;; amdgpu-corpus repo=ROCm/rocFFT kind=compiled arch=gfx1201 opt=O3
	.text
	.amdgcn_target "amdgcn-amd-amdhsa--gfx1201"
	.amdhsa_code_object_version 6
	.protected	fft_rtc_back_len1105_factors_17_13_5_wgs_255_tpt_85_halfLds_half_ip_CI_sbrr_dirReg ; -- Begin function fft_rtc_back_len1105_factors_17_13_5_wgs_255_tpt_85_halfLds_half_ip_CI_sbrr_dirReg
	.globl	fft_rtc_back_len1105_factors_17_13_5_wgs_255_tpt_85_halfLds_half_ip_CI_sbrr_dirReg
	.p2align	8
	.type	fft_rtc_back_len1105_factors_17_13_5_wgs_255_tpt_85_halfLds_half_ip_CI_sbrr_dirReg,@function
fft_rtc_back_len1105_factors_17_13_5_wgs_255_tpt_85_halfLds_half_ip_CI_sbrr_dirReg: ; @fft_rtc_back_len1105_factors_17_13_5_wgs_255_tpt_85_halfLds_half_ip_CI_sbrr_dirReg
; %bb.0:
	s_clause 0x1
	s_load_b64 s[12:13], s[0:1], 0x18
	s_load_b128 s[4:7], s[0:1], 0x0
	v_mul_u32_u24_e32 v1, 0x304, v0
	v_mov_b32_e32 v5, 0
	s_load_b64 s[10:11], s[0:1], 0x50
	s_wait_kmcnt 0x0
	s_load_b64 s[8:9], s[12:13], 0x0
	v_lshrrev_b32_e32 v1, 16, v1
	v_cmp_lt_u64_e64 s2, s[6:7], 2
	s_delay_alu instid0(VALU_DEP_2) | instskip(SKIP_4) | instid1(VALU_DEP_1)
	v_mad_co_u64_u32 v[1:2], null, ttmp9, 3, v[1:2]
	v_mov_b32_e32 v3, 0
	v_mov_b32_e32 v4, 0
	;; [unrolled: 1-line block ×3, first 2 shown]
	s_and_b32 vcc_lo, exec_lo, s2
	v_dual_mov_b32 v10, v2 :: v_dual_mov_b32 v9, v1
	s_cbranch_vccnz .LBB0_8
; %bb.1:
	s_load_b64 s[2:3], s[0:1], 0x10
	v_dual_mov_b32 v3, 0 :: v_dual_mov_b32 v8, v2
	v_dual_mov_b32 v4, 0 :: v_dual_mov_b32 v7, v1
	s_add_nc_u64 s[14:15], s[12:13], 8
	s_mov_b64 s[16:17], 1
	s_wait_kmcnt 0x0
	s_add_nc_u64 s[18:19], s[2:3], 8
	s_mov_b32 s3, 0
.LBB0_2:                                ; =>This Inner Loop Header: Depth=1
	s_load_b64 s[20:21], s[18:19], 0x0
                                        ; implicit-def: $vgpr9_vgpr10
	s_mov_b32 s2, exec_lo
	s_wait_kmcnt 0x0
	v_or_b32_e32 v6, s21, v8
	s_delay_alu instid0(VALU_DEP_1)
	v_cmpx_ne_u64_e32 0, v[5:6]
	s_wait_alu 0xfffe
	s_xor_b32 s22, exec_lo, s2
	s_cbranch_execz .LBB0_4
; %bb.3:                                ;   in Loop: Header=BB0_2 Depth=1
	s_cvt_f32_u32 s2, s20
	s_cvt_f32_u32 s23, s21
	s_sub_nc_u64 s[26:27], 0, s[20:21]
	s_wait_alu 0xfffe
	s_delay_alu instid0(SALU_CYCLE_1) | instskip(SKIP_1) | instid1(SALU_CYCLE_2)
	s_fmamk_f32 s2, s23, 0x4f800000, s2
	s_wait_alu 0xfffe
	v_s_rcp_f32 s2, s2
	s_delay_alu instid0(TRANS32_DEP_1) | instskip(SKIP_1) | instid1(SALU_CYCLE_2)
	s_mul_f32 s2, s2, 0x5f7ffffc
	s_wait_alu 0xfffe
	s_mul_f32 s23, s2, 0x2f800000
	s_wait_alu 0xfffe
	s_delay_alu instid0(SALU_CYCLE_2) | instskip(SKIP_1) | instid1(SALU_CYCLE_2)
	s_trunc_f32 s23, s23
	s_wait_alu 0xfffe
	s_fmamk_f32 s2, s23, 0xcf800000, s2
	s_cvt_u32_f32 s25, s23
	s_wait_alu 0xfffe
	s_delay_alu instid0(SALU_CYCLE_1) | instskip(SKIP_1) | instid1(SALU_CYCLE_2)
	s_cvt_u32_f32 s24, s2
	s_wait_alu 0xfffe
	s_mul_u64 s[28:29], s[26:27], s[24:25]
	s_wait_alu 0xfffe
	s_mul_hi_u32 s31, s24, s29
	s_mul_i32 s30, s24, s29
	s_mul_hi_u32 s2, s24, s28
	s_mul_i32 s33, s25, s28
	s_wait_alu 0xfffe
	s_add_nc_u64 s[30:31], s[2:3], s[30:31]
	s_mul_hi_u32 s23, s25, s28
	s_mul_hi_u32 s34, s25, s29
	s_add_co_u32 s2, s30, s33
	s_wait_alu 0xfffe
	s_add_co_ci_u32 s2, s31, s23
	s_mul_i32 s28, s25, s29
	s_add_co_ci_u32 s29, s34, 0
	s_wait_alu 0xfffe
	s_add_nc_u64 s[28:29], s[2:3], s[28:29]
	s_wait_alu 0xfffe
	v_add_co_u32 v2, s2, s24, s28
	s_delay_alu instid0(VALU_DEP_1) | instskip(SKIP_1) | instid1(VALU_DEP_1)
	s_cmp_lg_u32 s2, 0
	s_add_co_ci_u32 s25, s25, s29
	v_readfirstlane_b32 s24, v2
	s_wait_alu 0xfffe
	s_delay_alu instid0(VALU_DEP_1)
	s_mul_u64 s[26:27], s[26:27], s[24:25]
	s_wait_alu 0xfffe
	s_mul_hi_u32 s29, s24, s27
	s_mul_i32 s28, s24, s27
	s_mul_hi_u32 s2, s24, s26
	s_mul_i32 s30, s25, s26
	s_wait_alu 0xfffe
	s_add_nc_u64 s[28:29], s[2:3], s[28:29]
	s_mul_hi_u32 s23, s25, s26
	s_mul_hi_u32 s24, s25, s27
	s_wait_alu 0xfffe
	s_add_co_u32 s2, s28, s30
	s_add_co_ci_u32 s2, s29, s23
	s_mul_i32 s26, s25, s27
	s_add_co_ci_u32 s27, s24, 0
	s_wait_alu 0xfffe
	s_add_nc_u64 s[26:27], s[2:3], s[26:27]
	s_wait_alu 0xfffe
	v_add_co_u32 v2, s2, v2, s26
	s_delay_alu instid0(VALU_DEP_1) | instskip(SKIP_1) | instid1(VALU_DEP_1)
	s_cmp_lg_u32 s2, 0
	s_add_co_ci_u32 s2, s25, s27
	v_mul_hi_u32 v6, v7, v2
	s_wait_alu 0xfffe
	v_mad_co_u64_u32 v[9:10], null, v7, s2, 0
	v_mad_co_u64_u32 v[11:12], null, v8, v2, 0
	;; [unrolled: 1-line block ×3, first 2 shown]
	s_delay_alu instid0(VALU_DEP_3) | instskip(SKIP_1) | instid1(VALU_DEP_4)
	v_add_co_u32 v2, vcc_lo, v6, v9
	s_wait_alu 0xfffd
	v_add_co_ci_u32_e32 v6, vcc_lo, 0, v10, vcc_lo
	s_delay_alu instid0(VALU_DEP_2) | instskip(SKIP_1) | instid1(VALU_DEP_2)
	v_add_co_u32 v2, vcc_lo, v2, v11
	s_wait_alu 0xfffd
	v_add_co_ci_u32_e32 v2, vcc_lo, v6, v12, vcc_lo
	s_wait_alu 0xfffd
	v_add_co_ci_u32_e32 v6, vcc_lo, 0, v14, vcc_lo
	s_delay_alu instid0(VALU_DEP_2) | instskip(SKIP_1) | instid1(VALU_DEP_2)
	v_add_co_u32 v2, vcc_lo, v2, v13
	s_wait_alu 0xfffd
	v_add_co_ci_u32_e32 v6, vcc_lo, 0, v6, vcc_lo
	s_delay_alu instid0(VALU_DEP_2) | instskip(SKIP_1) | instid1(VALU_DEP_3)
	v_mul_lo_u32 v11, s21, v2
	v_mad_co_u64_u32 v[9:10], null, s20, v2, 0
	v_mul_lo_u32 v12, s20, v6
	s_delay_alu instid0(VALU_DEP_2) | instskip(NEXT) | instid1(VALU_DEP_2)
	v_sub_co_u32 v9, vcc_lo, v7, v9
	v_add3_u32 v10, v10, v12, v11
	s_delay_alu instid0(VALU_DEP_1) | instskip(SKIP_1) | instid1(VALU_DEP_1)
	v_sub_nc_u32_e32 v11, v8, v10
	s_wait_alu 0xfffd
	v_subrev_co_ci_u32_e64 v11, s2, s21, v11, vcc_lo
	v_add_co_u32 v12, s2, v2, 2
	s_wait_alu 0xf1ff
	v_add_co_ci_u32_e64 v13, s2, 0, v6, s2
	v_sub_co_u32 v14, s2, v9, s20
	v_sub_co_ci_u32_e32 v10, vcc_lo, v8, v10, vcc_lo
	s_wait_alu 0xf1ff
	v_subrev_co_ci_u32_e64 v11, s2, 0, v11, s2
	s_delay_alu instid0(VALU_DEP_3) | instskip(NEXT) | instid1(VALU_DEP_3)
	v_cmp_le_u32_e32 vcc_lo, s20, v14
	v_cmp_eq_u32_e64 s2, s21, v10
	s_wait_alu 0xfffd
	v_cndmask_b32_e64 v14, 0, -1, vcc_lo
	v_cmp_le_u32_e32 vcc_lo, s21, v11
	s_wait_alu 0xfffd
	v_cndmask_b32_e64 v15, 0, -1, vcc_lo
	v_cmp_le_u32_e32 vcc_lo, s20, v9
	;; [unrolled: 3-line block ×3, first 2 shown]
	s_wait_alu 0xfffd
	v_cndmask_b32_e64 v16, 0, -1, vcc_lo
	v_cmp_eq_u32_e32 vcc_lo, s21, v11
	s_wait_alu 0xf1ff
	s_delay_alu instid0(VALU_DEP_2)
	v_cndmask_b32_e64 v9, v16, v9, s2
	s_wait_alu 0xfffd
	v_cndmask_b32_e32 v11, v15, v14, vcc_lo
	v_add_co_u32 v14, vcc_lo, v2, 1
	s_wait_alu 0xfffd
	v_add_co_ci_u32_e32 v15, vcc_lo, 0, v6, vcc_lo
	s_delay_alu instid0(VALU_DEP_3) | instskip(SKIP_1) | instid1(VALU_DEP_2)
	v_cmp_ne_u32_e32 vcc_lo, 0, v11
	s_wait_alu 0xfffd
	v_dual_cndmask_b32 v10, v15, v13 :: v_dual_cndmask_b32 v11, v14, v12
	v_cmp_ne_u32_e32 vcc_lo, 0, v9
	s_wait_alu 0xfffd
	s_delay_alu instid0(VALU_DEP_2) | instskip(NEXT) | instid1(VALU_DEP_3)
	v_cndmask_b32_e32 v10, v6, v10, vcc_lo
	v_cndmask_b32_e32 v9, v2, v11, vcc_lo
.LBB0_4:                                ;   in Loop: Header=BB0_2 Depth=1
	s_wait_alu 0xfffe
	s_and_not1_saveexec_b32 s2, s22
	s_cbranch_execz .LBB0_6
; %bb.5:                                ;   in Loop: Header=BB0_2 Depth=1
	v_cvt_f32_u32_e32 v2, s20
	s_sub_co_i32 s22, 0, s20
	s_delay_alu instid0(VALU_DEP_1) | instskip(NEXT) | instid1(TRANS32_DEP_1)
	v_rcp_iflag_f32_e32 v2, v2
	v_mul_f32_e32 v2, 0x4f7ffffe, v2
	s_delay_alu instid0(VALU_DEP_1) | instskip(SKIP_1) | instid1(VALU_DEP_1)
	v_cvt_u32_f32_e32 v2, v2
	s_wait_alu 0xfffe
	v_mul_lo_u32 v6, s22, v2
	s_delay_alu instid0(VALU_DEP_1) | instskip(NEXT) | instid1(VALU_DEP_1)
	v_mul_hi_u32 v6, v2, v6
	v_add_nc_u32_e32 v2, v2, v6
	s_delay_alu instid0(VALU_DEP_1) | instskip(NEXT) | instid1(VALU_DEP_1)
	v_mul_hi_u32 v2, v7, v2
	v_mul_lo_u32 v6, v2, s20
	v_add_nc_u32_e32 v9, 1, v2
	s_delay_alu instid0(VALU_DEP_2) | instskip(NEXT) | instid1(VALU_DEP_1)
	v_sub_nc_u32_e32 v6, v7, v6
	v_subrev_nc_u32_e32 v10, s20, v6
	v_cmp_le_u32_e32 vcc_lo, s20, v6
	s_wait_alu 0xfffd
	s_delay_alu instid0(VALU_DEP_2) | instskip(SKIP_2) | instid1(VALU_DEP_3)
	v_cndmask_b32_e32 v6, v6, v10, vcc_lo
	v_mov_b32_e32 v10, v5
	v_cndmask_b32_e32 v2, v2, v9, vcc_lo
	v_cmp_le_u32_e32 vcc_lo, s20, v6
	s_delay_alu instid0(VALU_DEP_2) | instskip(SKIP_1) | instid1(VALU_DEP_1)
	v_add_nc_u32_e32 v9, 1, v2
	s_wait_alu 0xfffd
	v_cndmask_b32_e32 v9, v2, v9, vcc_lo
.LBB0_6:                                ;   in Loop: Header=BB0_2 Depth=1
	s_wait_alu 0xfffe
	s_or_b32 exec_lo, exec_lo, s2
	s_load_b64 s[22:23], s[14:15], 0x0
	v_mul_lo_u32 v2, v10, s20
	v_mul_lo_u32 v6, v9, s21
	v_mad_co_u64_u32 v[11:12], null, v9, s20, 0
	s_add_nc_u64 s[16:17], s[16:17], 1
	s_add_nc_u64 s[14:15], s[14:15], 8
	s_wait_alu 0xfffe
	v_cmp_ge_u64_e64 s2, s[16:17], s[6:7]
	s_add_nc_u64 s[18:19], s[18:19], 8
	s_delay_alu instid0(VALU_DEP_2) | instskip(NEXT) | instid1(VALU_DEP_3)
	v_add3_u32 v2, v12, v6, v2
	v_sub_co_u32 v6, vcc_lo, v7, v11
	s_wait_alu 0xfffd
	s_delay_alu instid0(VALU_DEP_2) | instskip(SKIP_3) | instid1(VALU_DEP_2)
	v_sub_co_ci_u32_e32 v2, vcc_lo, v8, v2, vcc_lo
	s_and_b32 vcc_lo, exec_lo, s2
	s_wait_kmcnt 0x0
	v_mul_lo_u32 v7, s23, v6
	v_mul_lo_u32 v2, s22, v2
	v_mad_co_u64_u32 v[3:4], null, s22, v6, v[3:4]
	s_delay_alu instid0(VALU_DEP_1)
	v_add3_u32 v4, v7, v4, v2
	s_wait_alu 0xfffe
	s_cbranch_vccnz .LBB0_8
; %bb.7:                                ;   in Loop: Header=BB0_2 Depth=1
	v_dual_mov_b32 v7, v9 :: v_dual_mov_b32 v8, v10
	s_branch .LBB0_2
.LBB0_8:
	s_lshl_b64 s[2:3], s[6:7], 3
	v_mul_hi_u32 v5, 0x3030304, v0
	s_wait_alu 0xfffe
	s_add_nc_u64 s[2:3], s[12:13], s[2:3]
	v_mov_b32_e32 v37, 0
	s_load_b64 s[2:3], s[2:3], 0x0
	s_load_b64 s[0:1], s[0:1], 0x20
                                        ; implicit-def: $vgpr42
                                        ; implicit-def: $vgpr22
                                        ; implicit-def: $vgpr41
                                        ; implicit-def: $vgpr23
                                        ; implicit-def: $vgpr40
                                        ; implicit-def: $vgpr15
                                        ; implicit-def: $vgpr39
                                        ; implicit-def: $vgpr16
                                        ; implicit-def: $vgpr38
                                        ; implicit-def: $vgpr14
                                        ; implicit-def: $vgpr36
                                        ; implicit-def: $vgpr12
                                        ; implicit-def: $vgpr35
                                        ; implicit-def: $vgpr13
                                        ; implicit-def: $vgpr24
                                        ; implicit-def: $vgpr32
                                        ; implicit-def: $vgpr31
                                        ; implicit-def: $vgpr30
                                        ; implicit-def: $vgpr8
                                        ; implicit-def: $vgpr29
                                        ; implicit-def: $vgpr28
                                        ; implicit-def: $vgpr27
                                        ; implicit-def: $vgpr11
                                        ; implicit-def: $vgpr26
                                        ; implicit-def: $vgpr17
                                        ; implicit-def: $vgpr25
	s_wait_kmcnt 0x0
	v_mul_lo_u32 v6, s2, v10
	v_mul_lo_u32 v7, s3, v9
	v_mad_co_u64_u32 v[2:3], null, s2, v9, v[3:4]
	v_mul_u32_u24_e32 v4, 0x55, v5
	v_cmp_gt_u64_e32 vcc_lo, s[0:1], v[9:10]
                                        ; implicit-def: $vgpr5
                                        ; implicit-def: $vgpr9
                                        ; implicit-def: $vgpr10
	s_delay_alu instid0(VALU_DEP_2) | instskip(SKIP_2) | instid1(VALU_DEP_3)
	v_sub_nc_u32_e32 v20, v0, v4
	v_mov_b32_e32 v0, 0
	v_add3_u32 v3, v7, v3, v6
                                        ; implicit-def: $vgpr4
                                        ; implicit-def: $vgpr6
                                        ; implicit-def: $vgpr7
	v_cmp_gt_u32_e64 s0, 0x41, v20
	s_delay_alu instid0(VALU_DEP_2) | instskip(NEXT) | instid1(VALU_DEP_2)
	v_lshlrev_b64_e32 v[18:19], 2, v[2:3]
	s_and_b32 s1, vcc_lo, s0
	s_wait_alu 0xfffe
	s_and_saveexec_b32 s2, s1
	s_cbranch_execz .LBB0_10
; %bb.9:
	v_add_nc_u32_e32 v8, 0x41, v20
	v_mad_co_u64_u32 v[2:3], null, s8, v20, 0
	v_add_nc_u32_e32 v24, 0x186, v20
	v_add_co_u32 v38, s1, s10, v18
	s_delay_alu instid0(VALU_DEP_4) | instskip(NEXT) | instid1(VALU_DEP_4)
	v_mad_co_u64_u32 v[4:5], null, s8, v8, 0
	v_dual_mov_b32 v0, v3 :: v_dual_add_nc_u32 v11, 0x82, v20
	s_wait_alu 0xf1ff
	v_add_co_ci_u32_e64 v39, s1, s11, v19, s1
	v_add_nc_u32_e32 v32, 0x249, v20
	s_delay_alu instid0(VALU_DEP_4) | instskip(SKIP_3) | instid1(VALU_DEP_4)
	v_dual_mov_b32 v3, v5 :: v_dual_add_nc_u32 v34, 0x2cb, v20
	v_mad_co_u64_u32 v[5:6], null, s9, v20, v[0:1]
	v_mad_co_u64_u32 v[6:7], null, s8, v11, 0
	v_add_nc_u32_e32 v13, 0xc3, v20
	v_mad_co_u64_u32 v[8:9], null, s9, v8, v[3:4]
	v_mad_co_u64_u32 v[26:27], null, s8, v32, 0
	s_delay_alu instid0(VALU_DEP_4) | instskip(NEXT) | instid1(VALU_DEP_4)
	v_dual_mov_b32 v3, v5 :: v_dual_mov_b32 v0, v7
	v_mad_co_u64_u32 v[9:10], null, s8, v13, 0
	s_delay_alu instid0(VALU_DEP_4) | instskip(SKIP_1) | instid1(VALU_DEP_4)
	v_mov_b32_e32 v5, v8
	v_add_nc_u32_e32 v25, 0x1c7, v20
	v_mad_co_u64_u32 v[7:8], null, s9, v11, v[0:1]
	v_add_nc_u32_e32 v8, 0x104, v20
	v_lshlrev_b64_e32 v[2:3], 2, v[2:3]
	v_mov_b32_e32 v0, v10
	v_lshlrev_b64_e32 v[4:5], 2, v[4:5]
	s_delay_alu instid0(VALU_DEP_4) | instskip(NEXT) | instid1(VALU_DEP_3)
	v_mad_co_u64_u32 v[11:12], null, s8, v8, 0
	v_mad_co_u64_u32 v[13:14], null, s9, v13, v[0:1]
	v_add_nc_u32_e32 v17, 0x145, v20
	v_add_co_u32 v2, s1, v38, v2
	v_lshlrev_b64_e32 v[6:7], 2, v[6:7]
	v_mov_b32_e32 v0, v12
	s_wait_alu 0xf1ff
	v_add_co_ci_u32_e64 v3, s1, v39, v3, s1
	v_mov_b32_e32 v10, v13
	v_mad_co_u64_u32 v[13:14], null, s8, v17, 0
	v_mad_co_u64_u32 v[15:16], null, s9, v8, v[0:1]
	v_add_co_u32 v4, s1, v38, v4
	s_delay_alu instid0(VALU_DEP_4)
	v_lshlrev_b64_e32 v[8:9], 2, v[9:10]
	s_wait_alu 0xf1ff
	v_add_co_ci_u32_e64 v5, s1, v39, v5, s1
	v_mov_b32_e32 v0, v14
	v_mov_b32_e32 v12, v15
	v_mad_co_u64_u32 v[15:16], null, s8, v24, 0
	v_add_co_u32 v6, s1, v38, v6
	s_delay_alu instid0(VALU_DEP_4) | instskip(SKIP_1) | instid1(VALU_DEP_4)
	v_mad_co_u64_u32 v[21:22], null, s9, v17, v[0:1]
	v_mad_co_u64_u32 v[22:23], null, s8, v25, 0
	v_mov_b32_e32 v0, v16
	v_lshlrev_b64_e32 v[10:11], 2, v[11:12]
	s_wait_alu 0xf1ff
	v_add_co_ci_u32_e64 v7, s1, v39, v7, s1
	v_mov_b32_e32 v14, v21
	v_mad_co_u64_u32 v[16:17], null, s9, v24, v[0:1]
	v_dual_mov_b32 v0, v23 :: v_dual_add_nc_u32 v21, 0x208, v20
	v_add_co_u32 v8, s1, v38, v8
	s_delay_alu instid0(VALU_DEP_4) | instskip(NEXT) | instid1(VALU_DEP_3)
	v_lshlrev_b64_e32 v[12:13], 2, v[13:14]
	v_mad_co_u64_u32 v[23:24], null, s9, v25, v[0:1]
	s_delay_alu instid0(VALU_DEP_4)
	v_mad_co_u64_u32 v[24:25], null, s8, v21, 0
	s_wait_alu 0xf1ff
	v_add_co_ci_u32_e64 v9, s1, v39, v9, s1
	v_add_co_u32 v10, s1, v38, v10
	v_lshlrev_b64_e32 v[14:15], 2, v[15:16]
	s_wait_alu 0xf1ff
	v_add_co_ci_u32_e64 v11, s1, v39, v11, s1
	v_mov_b32_e32 v0, v25
	v_lshlrev_b64_e32 v[16:17], 2, v[22:23]
	v_add_co_u32 v12, s1, v38, v12
	s_wait_alu 0xf1ff
	v_add_co_ci_u32_e64 v13, s1, v39, v13, s1
	v_mad_co_u64_u32 v[21:22], null, s9, v21, v[0:1]
	v_mov_b32_e32 v0, v27
	v_add_co_u32 v28, s1, v38, v14
	s_wait_alu 0xf1ff
	v_add_co_ci_u32_e64 v29, s1, v39, v15, s1
	v_add_co_u32 v30, s1, v38, v16
	v_mov_b32_e32 v25, v21
	v_mad_co_u64_u32 v[21:22], null, s9, v32, v[0:1]
	s_wait_alu 0xf1ff
	v_add_co_ci_u32_e64 v31, s1, v39, v17, s1
	s_clause 0x7
	global_load_b32 v0, v[2:3], off
	global_load_b32 v22, v[4:5], off
	;; [unrolled: 1-line block ×8, first 2 shown]
	v_add_nc_u32_e32 v17, 0x28a, v20
	v_mad_co_u64_u32 v[6:7], null, s8, v34, 0
	v_add_nc_u32_e32 v13, 0x30c, v20
	v_lshlrev_b64_e32 v[2:3], 2, v[24:25]
	s_delay_alu instid0(VALU_DEP_4)
	v_mad_co_u64_u32 v[32:33], null, s8, v17, 0
	v_mov_b32_e32 v27, v21
	v_add_nc_u32_e32 v21, 0x38e, v20
	v_mad_co_u64_u32 v[24:25], null, s8, v13, 0
	v_add_co_u32 v2, s1, v38, v2
	v_mov_b32_e32 v4, v33
	s_wait_alu 0xf1ff
	v_add_co_ci_u32_e64 v3, s1, v39, v3, s1
	s_wait_loadcnt 0x6
	v_lshrrev_b32_e32 v42, 16, v22
	s_wait_loadcnt 0x5
	v_lshrrev_b32_e32 v41, 16, v23
	;; [unrolled: 2-line block ×3, first 2 shown]
	s_wait_loadcnt 0x0
	v_mad_co_u64_u32 v[8:9], null, s9, v17, v[4:5]
	v_dual_mov_b32 v4, v7 :: v_dual_add_nc_u32 v17, 0x34d, v20
	v_lshlrev_b64_e32 v[9:10], 2, v[26:27]
	s_delay_alu instid0(VALU_DEP_3) | instskip(NEXT) | instid1(VALU_DEP_3)
	v_mov_b32_e32 v33, v8
	v_mad_co_u64_u32 v[7:8], null, s9, v34, v[4:5]
	v_mov_b32_e32 v4, v25
	v_mad_co_u64_u32 v[26:27], null, s8, v17, 0
	v_add_co_u32 v8, s1, v38, v9
	s_delay_alu instid0(VALU_DEP_3) | instskip(SKIP_1) | instid1(VALU_DEP_4)
	v_mad_co_u64_u32 v[28:29], null, s9, v13, v[4:5]
	v_mad_co_u64_u32 v[29:30], null, s8, v21, 0
	v_dual_mov_b32 v4, v27 :: v_dual_add_nc_u32 v13, 0x3cf, v20
	s_wait_alu 0xf1ff
	v_add_co_ci_u32_e64 v9, s1, v39, v10, s1
	s_delay_alu instid0(VALU_DEP_4) | instskip(NEXT) | instid1(VALU_DEP_3)
	v_mov_b32_e32 v25, v28
	v_mad_co_u64_u32 v[27:28], null, s9, v17, v[4:5]
	v_dual_mov_b32 v4, v30 :: v_dual_add_nc_u32 v17, 0x410, v20
	v_lshlrev_b64_e32 v[10:11], 2, v[32:33]
	v_mad_co_u64_u32 v[31:32], null, s8, v13, 0
	v_lshlrev_b64_e32 v[6:7], 2, v[6:7]
	s_delay_alu instid0(VALU_DEP_4)
	v_mad_co_u64_u32 v[33:34], null, s9, v21, v[4:5]
	v_mad_co_u64_u32 v[34:35], null, s8, v17, 0
	v_add_co_u32 v10, s1, v38, v10
	v_mov_b32_e32 v4, v32
	v_lshlrev_b64_e32 v[24:25], 2, v[24:25]
	s_wait_alu 0xf1ff
	v_add_co_ci_u32_e64 v11, s1, v39, v11, s1
	v_add_co_u32 v6, s1, v38, v6
	v_mov_b32_e32 v30, v33
	v_mad_co_u64_u32 v[32:33], null, s9, v13, v[4:5]
	v_mov_b32_e32 v4, v35
	s_wait_alu 0xf1ff
	v_add_co_ci_u32_e64 v7, s1, v39, v7, s1
	v_add_co_u32 v36, s1, v38, v24
	s_wait_alu 0xf1ff
	v_add_co_ci_u32_e64 v37, s1, v39, v25, s1
	v_lshlrev_b64_e32 v[24:25], 2, v[26:27]
	v_mad_co_u64_u32 v[26:27], null, s9, v17, v[4:5]
	v_lshlrev_b64_e32 v[27:28], 2, v[29:30]
	s_delay_alu instid0(VALU_DEP_3) | instskip(SKIP_1) | instid1(VALU_DEP_4)
	v_add_co_u32 v29, s1, v38, v24
	s_wait_alu 0xf1ff
	v_add_co_ci_u32_e64 v30, s1, v39, v25, s1
	s_delay_alu instid0(VALU_DEP_4)
	v_mov_b32_e32 v35, v26
	v_lshlrev_b64_e32 v[24:25], 2, v[31:32]
	v_add_co_u32 v31, s1, v38, v27
	s_wait_alu 0xf1ff
	v_add_co_ci_u32_e64 v32, s1, v39, v28, s1
	v_lshlrev_b64_e32 v[26:27], 2, v[34:35]
	s_delay_alu instid0(VALU_DEP_4) | instskip(SKIP_3) | instid1(VALU_DEP_4)
	v_add_co_u32 v33, s1, v38, v24
	s_wait_alu 0xf1ff
	v_add_co_ci_u32_e64 v34, s1, v39, v25, s1
	v_lshrrev_b32_e32 v35, 16, v5
	v_add_co_u32 v38, s1, v38, v26
	s_wait_alu 0xf1ff
	v_add_co_ci_u32_e64 v39, s1, v39, v27, s1
	s_clause 0x8
	global_load_b32 v24, v[2:3], off
	global_load_b32 v25, v[8:9], off
	;; [unrolled: 1-line block ×9, first 2 shown]
	v_lshrrev_b32_e32 v37, 16, v0
	v_lshrrev_b32_e32 v39, 16, v16
	;; [unrolled: 1-line block ×4, first 2 shown]
	s_wait_loadcnt 0x8
	v_lshrrev_b32_e32 v13, 16, v24
	s_wait_loadcnt 0x7
	v_lshrrev_b32_e32 v17, 16, v25
	;; [unrolled: 2-line block ×9, first 2 shown]
.LBB0_10:
	s_wait_alu 0xfffe
	s_or_b32 exec_lo, exec_lo, s2
	s_delay_alu instid0(VALU_DEP_1)
	v_sub_f16_e32 v49, v42, v4
	v_add_f16_e32 v50, v22, v32
	v_sub_f16_e32 v48, v41, v6
	v_add_f16_e32 v53, v23, v31
	v_sub_f16_e32 v51, v40, v7
	v_pk_mul_f16 v44, 0xbb29bbf7, v49 op_sel_hi:[1,0]
	v_add_f16_e32 v52, v15, v30
	v_pk_mul_f16 v45, 0xba62b1e1, v48 op_sel_hi:[1,0]
	v_sub_f16_e32 v55, v39, v8
	v_pk_mul_f16 v46, 0x31e13bb2, v51 op_sel_hi:[1,0]
	v_pk_fma_f16 v3, 0x37222de8, v50, v44 op_sel_hi:[1,0,1] neg_lo:[0,0,1] neg_hi:[0,0,1]
	v_add_f16_e32 v54, v16, v29
	v_pk_fma_f16 v21, 0xb8d2bbdd, v53, v45 op_sel_hi:[1,0,1] neg_lo:[0,0,1] neg_hi:[0,0,1]
	v_sub_f16_e32 v57, v38, v9
	v_pk_mul_f16 v47, 0x3bb235c8, v55 op_sel_hi:[1,0]
	v_pk_add_f16 v3, v0, v3 op_sel_hi:[0,1]
	v_pk_fma_f16 v33, 0xbbddb461, v52, v46 op_sel_hi:[1,0,1] neg_lo:[0,0,1] neg_hi:[0,0,1]
	v_mul_hi_u32 v2, 0xaaaaaaab, v1
	v_add_f16_e32 v56, v14, v28
	v_sub_f16_e32 v59, v36, v10
	v_pk_add_f16 v3, v3, v21
	v_pk_mul_f16 v43, 0x3964bb29, v57 op_sel_hi:[1,0]
	v_pk_fma_f16 v21, 0xb4613b76, v54, v47 op_sel_hi:[1,0,1] neg_lo:[0,0,1] neg_hi:[0,0,1]
	v_add_f16_e32 v58, v12, v27
	v_sub_f16_e32 v60, v35, v11
	v_pk_add_f16 v3, v3, v33
	v_pk_mul_f16 v34, 0xb5c8b836, v59 op_sel_hi:[1,0]
	v_pk_fma_f16 v63, 0x39e93722, v56, v43 op_sel_hi:[1,0,1] neg_lo:[0,0,1] neg_hi:[0,0,1]
	v_lshrrev_b32_e32 v2, 1, v2
	v_add_f16_e32 v61, v5, v26
	v_pk_add_f16 v3, v3, v21
	v_sub_f16_e32 v62, v13, v17
	v_pk_mul_f16 v33, 0xbbf73a62, v60 op_sel_hi:[1,0]
	v_pk_fma_f16 v21, 0x3b76bacd, v58, v34 op_sel_hi:[1,0,1] neg_lo:[0,0,1] neg_hi:[0,0,1]
	v_lshl_add_u32 v2, v2, 1, v2
	v_pk_add_f16 v64, v3, v63
	v_add_f16_e32 v63, v24, v25
	v_pk_mul_f16 v3, 0xb8363964, v62 op_sel_hi:[1,0]
	v_pk_fma_f16 v65, 0x2de8b8d2, v61, v33 op_sel_hi:[1,0,1] neg_lo:[0,0,1] neg_hi:[0,0,1]
	v_sub_nc_u32_e32 v1, v1, v2
	v_pk_add_f16 v21, v64, v21
	s_delay_alu instid0(VALU_DEP_4) | instskip(NEXT) | instid1(VALU_DEP_3)
	v_pk_fma_f16 v2, 0xbacd39e9, v63, v3 op_sel_hi:[1,0,1] neg_lo:[0,0,1] neg_hi:[0,0,1]
	v_mul_u32_u24_e32 v1, 0x451, v1
	s_delay_alu instid0(VALU_DEP_3) | instskip(NEXT) | instid1(VALU_DEP_1)
	v_pk_add_f16 v21, v21, v65
	v_pk_add_f16 v2, v21, v2
	s_delay_alu instid0(VALU_DEP_3)
	v_lshlrev_b32_e32 v21, 1, v1
	s_and_saveexec_b32 s1, s0
	s_cbranch_execz .LBB0_12
; %bb.11:
	v_pack_b32_f16 v1, v50, v50
	v_pk_mul_f16 v50, 0x37222de8, v50 op_sel_hi:[1,0]
	v_add_f16_e32 v64, v0, v22
	v_pack_b32_f16 v49, v49, v49
	v_perm_b32 v0, v0, v0, 0x5040100
	v_pack_b32_f16 v65, v53, v53
	v_pk_mul_f16 v53, 0xb8d2bbdd, v53 op_sel_hi:[1,0]
	v_pk_add_f16 v44, v44, v50
	v_pack_b32_f16 v48, v48, v48
	v_pack_b32_f16 v66, v52, v52
	v_pk_mul_f16 v52, 0xbbddb461, v52 op_sel_hi:[1,0]
	v_pk_mul_f16 v72, 0xb1e1b836, v49
	v_pk_mul_f16 v80, 0xba62bbb2, v49
	;; [unrolled: 1-line block ×3, first 2 shown]
	v_pk_add_f16 v44, v0, v44
	v_pk_add_f16 v45, v45, v53
	v_pack_b32_f16 v51, v51, v51
	v_pack_b32_f16 v67, v54, v54
	v_pk_mul_f16 v54, 0xb4613b76, v54 op_sel_hi:[1,0]
	v_pk_mul_f16 v73, 0x35c83b29, v48
	v_pk_mul_f16 v81, 0x3bb23836, v48
	v_pk_fma_f16 v88, 0x39e93b76, v1, v49
	v_pk_mul_f16 v48, 0xbbf7b964, v48
	v_pk_add_f16 v44, v44, v45
	v_pk_add_f16 v45, v46, v52
	v_pack_b32_f16 v55, v55, v55
	v_pack_b32_f16 v68, v56, v56
	v_pk_mul_f16 v56, 0x39e93722, v56 op_sel_hi:[1,0]
	v_pack_b32_f16 v59, v59, v59
	v_pk_mul_f16 v74, 0xb836bbf7, v51
	v_pk_mul_f16 v82, 0xb5c83964, v51
	;; [unrolled: 1-line block ×3, first 2 shown]
	v_pk_add_f16 v88, v0, v88
	v_pk_fma_f16 v89, 0x2de839e9, v65, v48
	v_pk_add_f16 v44, v44, v45
	v_pk_add_f16 v45, v47, v54
	v_pack_b32_f16 v57, v57, v57
	v_pack_b32_f16 v60, v60, v60
	v_pk_mul_f16 v75, 0x39643a62, v55
	v_pk_mul_f16 v77, 0x3b29b1e1, v59
	;; [unrolled: 1-line block ×6, first 2 shown]
	v_pk_add_f16 v59, v88, v89
	v_pk_fma_f16 v88, 0xb8d23722, v66, v51
	v_pk_fma_f16 v54, 0xb8d2b461, v1, v80
	v_pk_add_f16 v44, v44, v45
	v_pk_add_f16 v43, v43, v56
	v_pack_b32_f16 v69, v58, v58
	v_pk_mul_f16 v58, 0x3b76bacd, v58 op_sel_hi:[1,0]
	v_pk_mul_f16 v76, 0xba62b5c8, v57
	v_pk_mul_f16 v78, 0xbbb23964, v60
	;; [unrolled: 1-line block ×6, first 2 shown]
	v_pk_add_f16 v59, v59, v88
	v_pk_fma_f16 v60, 0xbbdd2de8, v67, v55
	v_pk_add_f16 v45, v0, v54
	v_pk_fma_f16 v54, 0xb461bacd, v65, v81
	;; [unrolled: 2-line block ×3, first 2 shown]
	v_add_f16_e32 v64, v64, v23
	v_pack_b32_f16 v70, v61, v61
	v_pk_mul_f16 v61, 0x2de8b8d2, v61 op_sel_hi:[1,0]
	v_pk_add_f16 v52, v59, v60
	v_pk_fma_f16 v59, 0xbacdb461, v68, v57
	v_pk_add_f16 v34, v34, v58
	v_pk_add_f16 v45, v45, v54
	v_pk_fma_f16 v54, 0x3b7639e9, v66, v82
	v_pk_add_f16 v44, v0, v44
	v_pk_fma_f16 v58, 0x3b763722, v65, v73
	v_add_f16_e32 v64, v64, v15
	v_pack_b32_f16 v62, v62, v62
	v_pk_add_f16 v52, v52, v59
	v_pk_fma_f16 v59, 0xb461b8d2, v69, v50
	v_pk_add_f16 v34, v43, v34
	v_pk_add_f16 v43, v45, v54
	v_pk_fma_f16 v45, 0xbacd3722, v67, v83
	v_pk_add_f16 v33, v33, v61
	v_pk_add_f16 v44, v44, v58
	v_pk_fma_f16 v54, 0xbacd2de8, v66, v74
	v_add_f16_e32 v64, v64, v16
	v_pack_b32_f16 v71, v63, v63
	v_pk_mul_f16 v63, 0xbacd39e9, v63 op_sel_hi:[1,0]
	v_pk_mul_f16 v46, 0x35c8b1e1, v62
	v_pk_add_f16 v52, v52, v59
	v_pk_fma_f16 v56, 0x3722bacd, v70, v53
	v_pk_add_f16 v43, v43, v45
	v_pk_fma_f16 v45, 0x2de8bbdd, v68, v84
	v_pk_add_f16 v33, v34, v33
	v_pk_add_f16 v34, v44, v54
	v_pk_fma_f16 v44, 0x39e9b8d2, v67, v75
	v_add_f16_e32 v64, v64, v14
	v_pk_add_f16 v52, v52, v56
	v_pk_add_f16 v3, v3, v63
	;; [unrolled: 1-line block ×3, first 2 shown]
	v_pk_fma_f16 v45, 0x39e92de8, v69, v85
	v_pk_fma_f16 v54, 0x3b76bbdd, v71, v46
	v_pk_add_f16 v34, v34, v44
	v_pk_fma_f16 v44, 0xb8d23b76, v68, v76
	v_add_f16_e32 v64, v64, v12
	v_pk_add_f16 v3, v33, v3
	v_pk_add_f16 v33, v43, v45
	v_pk_fma_f16 v45, 0xbbdd3b76, v70, v86
	v_pk_add_f16 v43, v52, v54
	v_pk_add_f16 v34, v34, v44
	v_pk_fma_f16 v52, 0x3722bbdd, v69, v77
	v_add_f16_e32 v64, v64, v5
	v_alignbit_b32 v44, v3, v3, 16
	v_pk_add_f16 v3, v33, v45
	v_pk_fma_f16 v45, 0xbbddbacd, v1, v72 neg_lo:[0,0,1] neg_hi:[0,0,1]
	v_pk_add_f16 v34, v34, v52
	v_pk_fma_f16 v52, 0xb8d2b461, v1, v80 neg_lo:[0,0,1] neg_hi:[0,0,1]
	v_pk_fma_f16 v1, 0x39e93b76, v1, v49 neg_lo:[0,0,1] neg_hi:[0,0,1]
	v_add_f16_e32 v64, v64, v24
	v_pk_add_f16 v45, v0, v45
	v_pk_fma_f16 v49, 0x3b763722, v65, v73 neg_lo:[0,0,1] neg_hi:[0,0,1]
	v_pk_add_f16 v52, v0, v52
	v_pk_fma_f16 v56, 0xb461bacd, v65, v81 neg_lo:[0,0,1] neg_hi:[0,0,1]
	v_pk_add_f16 v0, v0, v1
	v_pk_fma_f16 v1, 0x2de839e9, v65, v48 neg_lo:[0,0,1] neg_hi:[0,0,1]
	v_add_f16_e32 v64, v64, v25
	v_pk_add_f16 v45, v45, v49
	v_pk_fma_f16 v48, 0xbacd2de8, v66, v74 neg_lo:[0,0,1] neg_hi:[0,0,1]
	v_pk_add_f16 v49, v52, v56
	v_pk_fma_f16 v52, 0x3b7639e9, v66, v82 neg_lo:[0,0,1] neg_hi:[0,0,1]
	v_pk_add_f16 v0, v0, v1
	;; [unrolled: 7-line block ×5, first 2 shown]
	v_pk_fma_f16 v1, 0xb461b8d2, v69, v50 neg_lo:[0,0,1] neg_hi:[0,0,1]
	v_add_f16_e32 v64, v29, v64
	v_pk_mul_f16 v79, 0x3bf7bbb2, v62
	v_pk_mul_f16 v87, 0x3b29ba62, v62
	v_pk_add_f16 v45, v45, v48
	v_pk_fma_f16 v48, 0xb46139e9, v70, v78 neg_lo:[0,0,1] neg_hi:[0,0,1]
	v_pk_add_f16 v49, v49, v51
	v_pk_fma_f16 v50, 0xbbdd3b76, v70, v86 neg_lo:[0,0,1] neg_hi:[0,0,1]
	;; [unrolled: 2-line block ×3, first 2 shown]
	v_add_f16_e32 v64, v30, v64
	v_pk_fma_f16 v54, 0xb46139e9, v70, v78
	v_pk_add_f16 v45, v45, v48
	v_pk_fma_f16 v48, 0x2de8b461, v71, v79 neg_lo:[0,0,1] neg_hi:[0,0,1]
	v_pk_add_f16 v49, v49, v50
	v_pk_fma_f16 v50, 0x3722b8d2, v71, v87 neg_lo:[0,0,1] neg_hi:[0,0,1]
	;; [unrolled: 2-line block ×3, first 2 shown]
	v_add_f16_e32 v64, v31, v64
	v_mul_u32_u24_e32 v47, 34, v20
	v_pk_fma_f16 v33, 0x3722b8d2, v71, v87
	v_pk_add_f16 v34, v34, v54
	v_pk_fma_f16 v46, 0x2de8b461, v71, v79
	v_pk_add_f16 v48, v45, v48
	v_pk_add_f16 v49, v49, v50
	;; [unrolled: 1-line block ×3, first 2 shown]
	v_add_f16_e32 v60, v32, v64
	v_add3_u32 v47, 0, v47, v21
	v_pk_add_f16 v45, v3, v33
	v_pk_add_f16 v46, v34, v46
	v_alignbit_b32 v0, v48, v48, 16
	v_alignbit_b32 v1, v49, v49, 16
	;; [unrolled: 1-line block ×3, first 2 shown]
	ds_store_b16 v47, v60
	ds_store_b128 v47, v[43:46] offset:2
	ds_store_b128 v47, v[0:3] offset:18
.LBB0_12:
	s_wait_alu 0xfffe
	s_or_b32 exec_lo, exec_lo, s1
	v_sub_f16_e32 v53, v22, v32
	v_add_f16_e32 v47, v42, v4
	v_sub_f16_e32 v51, v23, v31
	v_add_f16_e32 v48, v41, v6
	v_sub_f16_e32 v56, v15, v30
	v_pk_mul_f16 v46, 0xbb29bbf7, v53 op_sel_hi:[1,0]
	v_sub_f16_e32 v55, v16, v29
	v_pk_mul_f16 v16, 0xba62b1e1, v51 op_sel_hi:[1,0]
	v_add_f16_e32 v49, v40, v7
	v_sub_f16_e32 v58, v14, v28
	v_pk_fma_f16 v0, 0x37222de8, v47, v46 op_sel_hi:[1,0,1]
	v_pk_mul_f16 v14, 0x31e13bb2, v56 op_sel_hi:[1,0]
	v_pk_fma_f16 v1, 0xb8d2bbdd, v48, v16 op_sel_hi:[1,0,1]
	v_add_f16_e32 v50, v39, v8
	v_sub_f16_e32 v59, v12, v27
	v_pk_add_f16 v0, v37, v0 op_sel_hi:[0,1]
	v_pk_mul_f16 v12, 0x3bb235c8, v55 op_sel_hi:[1,0]
	v_pk_fma_f16 v3, 0xbbddb461, v49, v14 op_sel_hi:[1,0,1]
	v_add_f16_e32 v52, v38, v9
	v_sub_f16_e32 v60, v5, v26
	v_pk_add_f16 v0, v0, v1
	v_pk_mul_f16 v15, 0x3964bb29, v58 op_sel_hi:[1,0]
	v_pk_fma_f16 v1, 0xb4613b76, v50, v12 op_sel_hi:[1,0,1]
	v_lshlrev_b32_e32 v5, 1, v20
	v_sub_f16_e32 v61, v24, v25
	v_pk_add_f16 v0, v0, v3
	v_pk_fma_f16 v22, 0x39e93722, v52, v15 op_sel_hi:[1,0,1]
	global_wb scope:SCOPE_SE
	s_wait_dscnt 0x0
	v_add_nc_u32_e32 v3, 0, v5
	s_barrier_signal -1
	v_pk_add_f16 v0, v0, v1
	v_add3_u32 v1, 0, v21, v5
	s_barrier_wait -1
	global_inv scope:SCOPE_SE
	v_add_f16_e32 v54, v36, v10
	v_pk_add_f16 v63, v0, v22
	v_add_nc_u32_e32 v0, v3, v21
	v_pk_mul_f16 v43, 0xb5c8b836, v59 op_sel_hi:[1,0]
	v_add_f16_e32 v57, v35, v11
	ds_load_u16 v22, v1
	ds_load_u16 v34, v0 offset:170
	ds_load_u16 v33, v0 offset:340
	;; [unrolled: 1-line block ×12, first 2 shown]
	v_pk_mul_f16 v44, 0xbbf73a62, v60 op_sel_hi:[1,0]
	v_pk_fma_f16 v45, 0x3b76bacd, v54, v43 op_sel_hi:[1,0,1]
	v_add_f16_e32 v62, v13, v17
	global_wb scope:SCOPE_SE
	s_wait_dscnt 0x0
	s_barrier_signal -1
	s_barrier_wait -1
	v_pk_add_f16 v5, v63, v45
	v_pk_fma_f16 v63, 0x2de8b8d2, v57, v44 op_sel_hi:[1,0,1]
	v_pk_mul_f16 v45, 0xb8363964, v61 op_sel_hi:[1,0]
	global_inv scope:SCOPE_SE
	v_pk_add_f16 v5, v5, v63
	v_pk_fma_f16 v63, 0xbacd39e9, v62, v45 op_sel_hi:[1,0,1]
	s_delay_alu instid0(VALU_DEP_1)
	v_pk_add_f16 v5, v5, v63
	s_and_saveexec_b32 s1, s0
	s_cbranch_execz .LBB0_14
; %bb.13:
	v_add_f16_e32 v42, v37, v42
	v_pack_b32_f16 v53, v53, v53
	v_pack_b32_f16 v63, v47, v47
	;; [unrolled: 1-line block ×4, first 2 shown]
	v_add_f16_e32 v41, v42, v41
	v_pack_b32_f16 v42, v51, v51
	v_perm_b32 v37, v37, v37, 0x5040100
	v_pack_b32_f16 v64, v48, v48
	v_pack_b32_f16 v56, v56, v56
	v_add_f16_e32 v40, v41, v40
	v_pack_b32_f16 v41, v55, v55
	v_pack_b32_f16 v55, v52, v52
	;; [unrolled: 1-line block ×4, first 2 shown]
	v_add_f16_e32 v39, v40, v39
	v_pack_b32_f16 v40, v59, v59
	v_pack_b32_f16 v59, v57, v57
	v_pk_mul_f16 v47, 0x37222de8, v47 op_sel_hi:[1,0]
	v_pack_b32_f16 v58, v58, v58
	v_add_f16_e32 v38, v39, v38
	v_pack_b32_f16 v39, v61, v61
	v_pk_mul_f16 v61, 0xbbf7b964, v42
	v_pack_b32_f16 v60, v60, v60
	v_pk_mul_f16 v68, 0x3836bbb2, v58
	v_add_f16_e32 v36, v38, v36
	v_pk_mul_f16 v38, 0xb4613b76, v50 op_sel_hi:[1,0]
	v_pk_mul_f16 v50, 0x39e93722, v52 op_sel_hi:[1,0]
	;; [unrolled: 1-line block ×4, first 2 shown]
	v_add_f16_e32 v35, v36, v35
	v_pk_mul_f16 v57, 0xb964b5c8, v53
	v_pk_mul_f16 v36, 0xbacd39e9, v62 op_sel_hi:[1,0]
	v_pk_mul_f16 v62, 0xba62bb29, v56
	v_pk_fma_f16 v72, 0x2de839e9, v64, v61 neg_lo:[0,0,1] neg_hi:[0,0,1]
	v_add_f16_e32 v13, v35, v13
	v_pk_fma_f16 v70, 0x39e93b76, v63, v57 neg_lo:[0,0,1] neg_hi:[0,0,1]
	v_pk_mul_f16 v35, 0xb1e1bbf7, v41
	v_pk_fma_f16 v61, 0x2de839e9, v64, v61
	v_pk_mul_f16 v69, 0x3bb2ba62, v40
	v_add_f16_e32 v13, v13, v17
	v_pk_add_f16 v70, v37, v70
	v_pk_mul_f16 v17, 0x3b29b836, v60
	v_pk_mul_f16 v48, 0xb8d2bbdd, v48 op_sel_hi:[1,0]
	v_pk_mul_f16 v49, 0xbbddb461, v49 op_sel_hi:[1,0]
	v_add_f16_e32 v11, v11, v13
	v_pk_add_f16 v13, v47, v46 neg_lo:[0,1] neg_hi:[0,1]
	v_pk_fma_f16 v46, 0xb8d23722, v51, v62 neg_lo:[0,0,1] neg_hi:[0,0,1]
	v_pk_fma_f16 v47, 0x39e93b76, v63, v57
	v_pk_add_f16 v57, v70, v72
	v_add_f16_e32 v10, v10, v11
	v_pk_fma_f16 v11, 0xbbdd2de8, v65, v35 neg_lo:[0,0,1] neg_hi:[0,0,1]
	v_pk_fma_f16 v35, 0xbbdd2de8, v65, v35
	v_pk_add_f16 v47, v37, v47
	v_pk_add_f16 v46, v57, v46
	v_add_f16_e32 v9, v9, v10
	v_pk_fma_f16 v10, 0xbacdb461, v55, v68 neg_lo:[0,0,1] neg_hi:[0,0,1]
	v_pk_fma_f16 v57, 0xb8d23722, v51, v62
	v_pk_add_f16 v47, v47, v61
	v_pk_add_f16 v11, v46, v11
	v_add_f16_e32 v8, v8, v9
	v_pk_fma_f16 v9, 0xb461b8d2, v66, v69 neg_lo:[0,0,1] neg_hi:[0,0,1]
	v_pk_mul_f16 v71, 0x35c8b1e1, v39
	v_pk_add_f16 v46, v47, v57
	v_pk_add_f16 v10, v11, v10
	v_add_f16_e32 v7, v7, v8
	v_pk_fma_f16 v8, 0x3722bacd, v59, v17 neg_lo:[0,0,1] neg_hi:[0,0,1]
	v_pk_fma_f16 v11, 0xbacdb461, v55, v68
	v_pk_add_f16 v35, v46, v35
	v_pk_add_f16 v9, v10, v9
	v_add_f16_e32 v6, v6, v7
	v_pk_mul_f16 v10, 0xba62bbb2, v53
	v_pk_fma_f16 v7, 0x3b76bbdd, v67, v71 neg_lo:[0,0,1] neg_hi:[0,0,1]
	v_pk_add_f16 v11, v35, v11
	v_pk_add_f16 v8, v9, v8
	v_add_f16_e32 v35, v4, v6
	v_pk_add_f16 v6, v37, v13
	v_pk_add_f16 v9, v48, v16 neg_lo:[0,1] neg_hi:[0,1]
	v_pk_fma_f16 v4, 0xb461b8d2, v66, v69
	v_pk_fma_f16 v16, 0x3722bacd, v59, v17
	v_pk_add_f16 v7, v8, v7
	v_pk_fma_f16 v8, 0xb8d2b461, v63, v10 neg_lo:[0,0,1] neg_hi:[0,0,1]
	v_pk_add_f16 v6, v6, v9
	v_pk_add_f16 v9, v49, v14 neg_lo:[0,1] neg_hi:[0,1]
	v_pk_add_f16 v4, v11, v4
	v_pk_mul_f16 v13, 0x3bb23836, v42
	v_pk_fma_f16 v10, 0xb8d2b461, v63, v10
	v_pk_add_f16 v8, v37, v8
	v_pk_add_f16 v6, v6, v9
	v_pk_add_f16 v9, v38, v12 neg_lo:[0,1] neg_hi:[0,1]
	v_pk_add_f16 v4, v4, v16
	v_pk_fma_f16 v16, 0x3b76bbdd, v67, v71
	v_pk_fma_f16 v11, 0xb461bacd, v64, v13 neg_lo:[0,0,1] neg_hi:[0,0,1]
	v_pk_mul_f16 v14, 0xb5c83964, v56
	v_pk_add_f16 v6, v6, v9
	v_pk_add_f16 v9, v50, v15 neg_lo:[0,1] neg_hi:[0,1]
	v_pk_add_f16 v16, v4, v16
	v_pk_add_f16 v10, v37, v10
	v_pk_fma_f16 v13, 0xb461bacd, v64, v13
	v_pk_add_f16 v8, v8, v11
	v_pk_add_f16 v6, v6, v9
	v_pk_add_f16 v9, v52, v43 neg_lo:[0,1] neg_hi:[0,1]
	v_pk_fma_f16 v11, 0x3b7639e9, v51, v14 neg_lo:[0,0,1] neg_hi:[0,0,1]
	v_pk_add_f16 v10, v10, v13
	v_pk_fma_f16 v13, 0x3b7639e9, v51, v14
	v_pk_mul_f16 v12, 0xb836bb29, v41
	v_pk_add_f16 v4, v6, v9
	v_pk_add_f16 v6, v54, v44 neg_lo:[0,1] neg_hi:[0,1]
	v_pk_add_f16 v8, v8, v11
	v_pk_add_f16 v10, v10, v13
	v_pk_fma_f16 v11, 0xbacd3722, v65, v12 neg_lo:[0,0,1] neg_hi:[0,0,1]
	v_pk_mul_f16 v15, 0x3bf7b1e1, v58
	v_pk_add_f16 v4, v4, v6
	v_pk_add_f16 v6, v36, v45 neg_lo:[0,1] neg_hi:[0,1]
	v_pk_mul_f16 v36, 0x35c83b29, v42
	v_pk_mul_f16 v42, 0xb836bbf7, v56
	v_pk_fma_f16 v12, 0xbacd3722, v65, v12
	v_pk_add_f16 v8, v8, v11
	v_pk_add_f16 v4, v4, v6
	v_pk_mul_f16 v6, 0xb1e1b836, v53
	v_pk_fma_f16 v11, 0x2de8bbdd, v55, v15 neg_lo:[0,0,1] neg_hi:[0,0,1]
	v_pk_mul_f16 v17, 0xb9643bf7, v40
	v_pk_add_f16 v10, v10, v12
	v_pk_fma_f16 v15, 0x2de8bbdd, v55, v15
	v_pk_fma_f16 v14, 0xbbddbacd, v63, v6 neg_lo:[0,0,1] neg_hi:[0,0,1]
	v_pk_fma_f16 v6, 0xbbddbacd, v63, v6
	v_pk_add_f16 v8, v8, v11
	v_pk_fma_f16 v9, 0x39e92de8, v66, v17 neg_lo:[0,0,1] neg_hi:[0,0,1]
	v_pk_mul_f16 v11, 0xb1e1b5c8, v60
	v_pk_add_f16 v13, v37, v14
	v_pk_fma_f16 v14, 0x3b763722, v64, v36 neg_lo:[0,0,1] neg_hi:[0,0,1]
	v_pk_add_f16 v6, v37, v6
	v_pk_fma_f16 v36, 0x3b763722, v64, v36
	v_pk_mul_f16 v37, 0x39643a62, v41
	v_pk_add_f16 v8, v8, v9
	v_pk_add_f16 v13, v13, v14
	v_pk_fma_f16 v14, 0xbacd2de8, v51, v42 neg_lo:[0,0,1] neg_hi:[0,0,1]
	v_pk_add_f16 v6, v6, v36
	v_pk_fma_f16 v36, 0xbacd2de8, v51, v42
	v_pk_fma_f16 v9, 0xbbdd3b76, v59, v11 neg_lo:[0,0,1] neg_hi:[0,0,1]
	v_pk_add_f16 v10, v10, v15
	v_pk_add_f16 v12, v13, v14
	v_pk_fma_f16 v13, 0x39e9b8d2, v65, v37 neg_lo:[0,0,1] neg_hi:[0,0,1]
	v_pk_mul_f16 v14, 0xba62b5c8, v58
	v_pk_add_f16 v6, v6, v36
	v_pk_fma_f16 v36, 0x39e9b8d2, v65, v37
	v_pk_mul_f16 v37, 0x3b29b1e1, v40
	v_pk_add_f16 v12, v12, v13
	v_pk_fma_f16 v13, 0xb8d23b76, v55, v14 neg_lo:[0,0,1] neg_hi:[0,0,1]
	v_pk_fma_f16 v14, 0xb8d23b76, v55, v14
	v_pk_add_f16 v6, v6, v36
	v_pk_fma_f16 v15, 0x39e92de8, v66, v17
	v_pk_mul_f16 v17, 0xbbb23964, v60
	v_pk_add_f16 v12, v12, v13
	v_pk_fma_f16 v13, 0x3722bbdd, v66, v37 neg_lo:[0,0,1] neg_hi:[0,0,1]
	v_pk_add_f16 v6, v6, v14
	v_pk_fma_f16 v14, 0x3722bbdd, v66, v37
	v_pk_add_f16 v8, v8, v9
	v_pk_mul_f16 v9, 0x3b29ba62, v39
	v_pk_add_f16 v10, v10, v15
	v_pk_fma_f16 v11, 0xbbdd3b76, v59, v11
	v_pk_add_f16 v12, v12, v13
	v_pk_add_f16 v6, v6, v14
	v_pk_fma_f16 v13, 0xb46139e9, v59, v17
	v_pk_mul_f16 v14, 0x3bf7bbb2, v39
	v_pk_fma_f16 v15, 0xb46139e9, v59, v17 neg_lo:[0,0,1] neg_hi:[0,0,1]
	v_pk_add_f16 v10, v10, v11
	v_pk_fma_f16 v11, 0x3722b8d2, v67, v9
	v_pk_add_f16 v6, v6, v13
	v_pk_fma_f16 v13, 0x2de8b461, v67, v14
	v_pk_add_f16 v12, v12, v15
	v_pk_fma_f16 v14, 0x2de8b461, v67, v14 neg_lo:[0,0,1] neg_hi:[0,0,1]
	v_lshlrev_b32_e32 v15, 5, v20
	v_pk_fma_f16 v38, 0x3722b8d2, v67, v9 neg_lo:[0,0,1] neg_hi:[0,0,1]
	v_pk_add_f16 v6, v6, v13
	v_pk_add_f16 v11, v10, v11
	;; [unrolled: 1-line block ×3, first 2 shown]
	v_add3_u32 v12, v3, v15, v21
	v_pk_add_f16 v9, v8, v38
	v_alignbit_b32 v8, v4, v4, 16
	v_alignbit_b32 v3, v6, v6, 16
	;; [unrolled: 1-line block ×4, first 2 shown]
	ds_store_b16 v12, v35
	ds_store_b128 v12, v[7:10] offset:2
	ds_store_b128 v12, v[3:6] offset:18
.LBB0_14:
	s_wait_alu 0xfffe
	s_or_b32 exec_lo, exec_lo, s1
	v_and_b32_e32 v3, 0xff, v20
	global_wb scope:SCOPE_SE
	s_wait_dscnt 0x0
	s_barrier_signal -1
	s_barrier_wait -1
	global_inv scope:SCOPE_SE
	v_mul_lo_u16 v3, 0xf1, v3
	v_cmp_gt_u32_e64 s0, 51, v20
	s_delay_alu instid0(VALU_DEP_2) | instskip(NEXT) | instid1(VALU_DEP_1)
	v_lshrrev_b16 v3, 12, v3
	v_mul_lo_u16 v4, v3, 17
	v_and_b32_e32 v3, 0xffff, v3
	s_delay_alu instid0(VALU_DEP_2) | instskip(NEXT) | instid1(VALU_DEP_2)
	v_sub_nc_u16 v4, v20, v4
	v_mad_u32_u24 v3, 0x1ba, v3, 0
	s_delay_alu instid0(VALU_DEP_2) | instskip(NEXT) | instid1(VALU_DEP_1)
	v_and_b32_e32 v4, 0xff, v4
	v_mul_u32_u24_e32 v6, 12, v4
	v_lshlrev_b32_e32 v4, 1, v4
	s_delay_alu instid0(VALU_DEP_2) | instskip(NEXT) | instid1(VALU_DEP_2)
	v_lshlrev_b32_e32 v14, 2, v6
	v_add3_u32 v35, v3, v4, v21
	s_clause 0x2
	global_load_b128 v[6:9], v14, s[4:5]
	global_load_b128 v[10:13], v14, s[4:5] offset:16
	global_load_b128 v[14:17], v14, s[4:5] offset:32
	ds_load_u16 v48, v0 offset:170
	ds_load_u16 v49, v0 offset:340
	;; [unrolled: 1-line block ×12, first 2 shown]
	ds_load_u16 v36, v1
	global_wb scope:SCOPE_SE
	s_wait_loadcnt_dscnt 0x0
	s_barrier_signal -1
	s_barrier_wait -1
	global_inv scope:SCOPE_SE
	v_lshrrev_b32_e32 v3, 16, v6
	v_lshrrev_b32_e32 v4, 16, v7
	;; [unrolled: 1-line block ×12, first 2 shown]
	v_mul_f16_e32 v46, v48, v3
	v_mul_f16_e32 v3, v34, v3
	;; [unrolled: 1-line block ×24, first 2 shown]
	v_fmac_f16_e32 v46, v34, v6
	v_fma_f16 v34, v48, v6, -v3
	v_fmac_f16_e32 v44, v33, v7
	v_fma_f16 v33, v49, v7, -v4
	v_fmac_f16_e32 v42, v32, v8
	v_fma_f16 v32, v50, v8, -v63
	v_fmac_f16_e32 v40, v31, v9
	v_fma_f16 v31, v51, v9, -v64
	v_fmac_f16_e32 v38, v30, v10
	v_fma_f16 v30, v52, v10, -v65
	v_fma_f16 v7, v53, v11, -v66
	v_fmac_f16_e32 v37, v28, v12
	v_fma_f16 v28, v54, v12, -v67
	v_fmac_f16_e32 v39, v27, v13
	;; [unrolled: 2-line block ×4, first 2 shown]
	v_fmac_f16_e32 v47, v26, v17
	v_fma_f16 v24, v59, v17, -v62
	v_fmac_f16_e32 v45, v23, v16
	v_fma_f16 v23, v58, v16, -v61
	v_fma_f16 v26, v57, v15, -v60
	v_fmac_f16_e32 v21, v29, v11
	v_sub_f16_e32 v4, v34, v24
	v_sub_f16_e32 v12, v31, v25
	;; [unrolled: 1-line block ×6, first 2 shown]
	v_add_f16_e32 v27, v22, v46
	v_add_f16_e32 v3, v46, v47
	;; [unrolled: 1-line block ×7, first 2 shown]
	v_mul_f16_e32 v29, 0xbbf1, v4
	v_mul_f16_e32 v48, 0xbb7b, v4
	;; [unrolled: 1-line block ×20, first 2 shown]
	v_pk_mul_f16 v4, 0xba95b770, v4 op_sel_hi:[1,0]
	v_pk_mul_f16 v8, 0xbb7bba95, v8 op_sel_hi:[1,0]
	;; [unrolled: 1-line block ×6, first 2 shown]
	v_mul_f16_e32 v68, 0xb94e, v17
	v_mul_f16_e32 v69, 0x3a95, v17
	;; [unrolled: 1-line block ×4, first 2 shown]
	v_add_f16_e32 v27, v27, v44
	v_fmamk_f16 v71, v3, 0x2fb7, v29
	v_fma_f16 v29, v3, 0x2fb7, -v29
	v_fmamk_f16 v72, v3, 0xb5ac, v48
	v_fma_f16 v48, v3, 0xb5ac, -v48
	v_fmamk_f16 v73, v3, 0xb9fd, v49
	v_fma_f16 v49, v3, 0xb9fd, -v49
	v_fmamk_f16 v74, v3, 0xbbc4, v50
	v_fma_f16 v50, v3, 0xbbc4, -v50
	v_fmamk_f16 v75, v6, 0xbbc4, v51
	v_fma_f16 v51, v6, 0xbbc4, -v51
	v_fmamk_f16 v76, v6, 0xb9fd, v52
	v_fma_f16 v52, v6, 0xb9fd, -v52
	v_fmamk_f16 v77, v6, 0x2fb7, v53
	v_fma_f16 v53, v6, 0x2fb7, -v53
	v_fmamk_f16 v78, v6, 0x3b15, v54
	v_fma_f16 v54, v6, 0x3b15, -v54
	v_fmamk_f16 v79, v9, 0xb5ac, v55
	v_fma_f16 v55, v9, 0xb5ac, -v55
	v_fmamk_f16 v80, v9, 0x3b15, v56
	v_fma_f16 v56, v9, 0x3b15, -v56
	v_fmamk_f16 v81, v9, 0x388b, v57
	v_fma_f16 v57, v9, 0x388b, -v57
	v_fmamk_f16 v82, v9, 0xb9fd, v58
	v_fma_f16 v58, v9, 0xb9fd, -v58
	v_fmamk_f16 v83, v11, 0x3b15, v59
	v_fma_f16 v59, v11, 0x3b15, -v59
	v_fmamk_f16 v84, v11, 0x2fb7, v60
	v_fma_f16 v60, v11, 0x2fb7, -v60
	v_fmamk_f16 v85, v11, 0xbbc4, v61
	v_fma_f16 v61, v11, 0xbbc4, -v61
	v_fmamk_f16 v86, v11, 0x388b, v62
	v_fma_f16 v62, v11, 0x388b, -v62
	v_fmamk_f16 v87, v14, 0x388b, v63
	v_fma_f16 v63, v14, 0x388b, -v63
	v_fmamk_f16 v88, v14, 0xbbc4, v64
	v_fma_f16 v64, v14, 0xbbc4, -v64
	v_fmamk_f16 v89, v14, 0x3b15, v65
	v_fma_f16 v65, v14, 0x3b15, -v65
	v_fmamk_f16 v90, v14, 0xb5ac, v66
	v_fma_f16 v66, v14, 0xb5ac, -v66
	v_pk_fma_f16 v91, 0x388b3b15, v3, v4 op_sel_hi:[1,0,1]
	v_pk_fma_f16 v3, 0x388b3b15, v3, v4 op_sel_hi:[1,0,1] neg_lo:[0,0,1] neg_hi:[0,0,1]
	v_pk_fma_f16 v4, 0xb5ac388b, v6, v8 op_sel_hi:[1,0,1]
	v_pk_fma_f16 v6, 0xb5ac388b, v6, v8 op_sel_hi:[1,0,1] neg_lo:[0,0,1] neg_hi:[0,0,1]
	;; [unrolled: 2-line block ×6, first 2 shown]
	v_fmamk_f16 v92, v16, 0xb9fd, v68
	v_fma_f16 v68, v16, 0xb9fd, -v68
	v_fmamk_f16 v93, v16, 0x388b, v69
	v_fma_f16 v69, v16, 0x388b, -v69
	;; [unrolled: 2-line block ×4, first 2 shown]
	v_add_f16_e32 v17, v27, v42
	v_add_f16_e32 v27, v22, v71
	;; [unrolled: 1-line block ×6, first 2 shown]
	v_lshrrev_b32_e32 v74, 16, v91
	v_add_f16_e32 v91, v22, v91
	v_add_f16_e32 v29, v22, v29
	;; [unrolled: 1-line block ×4, first 2 shown]
	v_lshrrev_b32_e32 v75, 16, v4
	v_add_f16_e32 v4, v4, v91
	v_add_f16_e32 v48, v22, v48
	;; [unrolled: 1-line block ×4, first 2 shown]
	v_pk_add_f16 v3, v22, v3 op_sel_hi:[0,1]
	v_add_f16_e32 v50, v22, v50
	v_add_f16_e32 v29, v51, v29
	v_lshrrev_b32_e32 v51, 16, v8
	v_add_f16_e32 v22, v22, v74
	v_add_f16_e32 v4, v8, v4
	;; [unrolled: 1-line block ×7, first 2 shown]
	v_pk_add_f16 v3, v6, v3
	v_add_f16_e32 v53, v78, v73
	v_add_f16_e32 v50, v54, v50
	;; [unrolled: 1-line block ×10, first 2 shown]
	v_pk_add_f16 v3, v9, v3
	v_add_f16_e32 v53, v82, v53
	v_lshrrev_b32_e32 v76, 16, v10
	v_add_f16_e32 v50, v58, v50
	v_add_f16_e32 v22, v51, v22
	;; [unrolled: 1-line block ×9, first 2 shown]
	v_pk_add_f16 v3, v11, v3
	v_add_f16_e32 v49, v86, v53
	v_lshrrev_b32_e32 v52, 16, v12
	v_add_f16_e32 v6, v83, v6
	v_add_f16_e32 v50, v62, v50
	;; [unrolled: 1-line block ×10, first 2 shown]
	v_pk_add_f16 v3, v14, v3
	v_add_f16_e32 v29, v90, v49
	v_lshrrev_b32_e32 v77, 16, v15
	v_add_f16_e32 v6, v87, v6
	v_add_f16_e32 v12, v66, v50
	;; [unrolled: 1-line block ×5, first 2 shown]
	v_pk_add_f16 v4, v67, v3
	v_add_f16_e32 v3, v68, v9
	v_add_f16_e32 v9, v93, v10
	;; [unrolled: 1-line block ×10, first 2 shown]
	ds_store_b16 v35, v17 offset:272
	ds_store_b16 v35, v10 offset:306
	;; [unrolled: 1-line block ×3, first 2 shown]
	ds_store_b16_d16_hi v35, v4 offset:374
	ds_store_b16 v35, v4 offset:408
	ds_store_b16 v35, v15 offset:34
	;; [unrolled: 1-line block ×8, first 2 shown]
	ds_store_b16 v35, v8
	global_wb scope:SCOPE_SE
	s_wait_dscnt 0x0
	s_barrier_signal -1
	s_barrier_wait -1
	global_inv scope:SCOPE_SE
	ds_load_u16 v6, v1
	ds_load_u16 v14, v0 offset:1496
	ds_load_u16 v9, v0 offset:1326
	;; [unrolled: 1-line block ×9, first 2 shown]
	s_and_saveexec_b32 s1, s0
	s_cbranch_execz .LBB0_16
; %bb.15:
	ds_load_u16 v4, v0 offset:1224
	ds_load_u16 v2, v0 offset:1666
	;; [unrolled: 1-line block ×3, first 2 shown]
	s_wait_dscnt 0x2
	ds_load_u16_d16_hi v4, v0 offset:782
	s_wait_dscnt 0x2
	ds_load_u16_d16_hi v2, v0 offset:2108
.LBB0_16:
	s_wait_alu 0xfffe
	s_or_b32 exec_lo, exec_lo, s1
	v_add_f16_e32 v22, v36, v34
	v_add_f16_e32 v27, v34, v24
	v_sub_f16_e32 v29, v46, v47
	v_add_f16_e32 v34, v33, v23
	v_sub_f16_e32 v44, v44, v45
	v_add_f16_e32 v22, v22, v33
	v_add_f16_e32 v33, v32, v26
	v_mul_f16_e32 v46, 0xbbc4, v27
	v_sub_f16_e32 v42, v42, v43
	v_mul_f16_e32 v43, 0x2fb7, v27
	v_add_f16_e32 v22, v22, v32
	v_mul_f16_e32 v32, 0xb9fd, v27
	v_mul_f16_e32 v45, 0xb5ac, v27
	v_mul_f16_e32 v49, 0x2fb7, v34
	v_mul_f16_e32 v50, 0x3b15, v34
	v_add_f16_e32 v22, v22, v31
	v_fmamk_f16 v54, v29, 0x394e, v32
	v_fmac_f16_e32 v32, 0xb94e, v29
	v_fmamk_f16 v55, v29, 0x33a8, v46
	v_mul_f16_e32 v47, 0xbbc4, v34
	v_add_f16_e32 v22, v22, v30
	v_mul_f16_e32 v48, 0xb9fd, v34
	v_fmamk_f16 v52, v29, 0x3bf1, v43
	v_fmac_f16_e32 v43, 0xbbf1, v29
	v_fmamk_f16 v53, v29, 0x3b7b, v45
	v_add_f16_e32 v22, v22, v7
	v_fmac_f16_e32 v45, 0xbb7b, v29
	v_fmac_f16_e32 v46, 0xb3a8, v29
	v_fmamk_f16 v58, v44, 0xbbf1, v49
	v_fmac_f16_e32 v49, 0x3bf1, v44
	v_add_f16_e32 v22, v22, v28
	v_fmamk_f16 v59, v44, 0xb770, v50
	v_mul_f16_e32 v51, 0xb5ac, v33
	v_fmamk_f16 v56, v44, 0x33a8, v47
	v_fmac_f16_e32 v47, 0xb3a8, v44
	v_add_f16_e32 v22, v22, v13
	v_fmamk_f16 v57, v44, 0xb94e, v48
	v_fmac_f16_e32 v48, 0x394e, v44
	v_fmac_f16_e32 v50, 0x3770, v44
	v_add_f16_e32 v52, v36, v52
	v_add_f16_e32 v22, v22, v25
	;; [unrolled: 1-line block ×15, first 2 shown]
	v_fmamk_f16 v48, v42, 0xbb7b, v51
	v_add_f16_e32 v22, v22, v24
	v_add_f16_e32 v24, v49, v26
	;; [unrolled: 1-line block ×3, first 2 shown]
	v_mul_f16_e32 v32, 0x3b15, v33
	v_add_f16_e32 v46, v50, v46
	v_mul_f16_e32 v49, 0x388b, v33
	v_add_f16_e32 v47, v58, v54
	v_add_f16_e32 v48, v48, v52
	v_fmamk_f16 v50, v42, 0xb770, v32
	v_fmac_f16_e32 v32, 0x3770, v42
	v_fmamk_f16 v52, v42, 0x3a95, v49
	v_add_f16_e32 v25, v31, v25
	v_fmac_f16_e32 v51, 0x3b7b, v42
	v_add_f16_e32 v43, v50, v43
	v_mul_f16_e32 v50, 0xb9fd, v33
	v_add_f16_e32 v32, v32, v45
	v_add_f16_e32 v45, v52, v47
	v_fmac_f16_e32 v49, 0xba95, v42
	v_sub_f16_e32 v40, v40, v41
	v_fmamk_f16 v31, v42, 0x394e, v50
	v_fmac_f16_e32 v50, 0xb94e, v42
	v_mul_f16_e32 v41, 0x3b15, v25
	v_mul_f16_e32 v47, 0x2fb7, v25
	v_add_f16_e32 v23, v51, v23
	v_add_f16_e32 v24, v49, v24
	;; [unrolled: 1-line block ×4, first 2 shown]
	v_fmamk_f16 v46, v40, 0xb770, v41
	v_fmac_f16_e32 v41, 0x3770, v40
	v_fmamk_f16 v49, v40, 0x3bf1, v47
	v_mul_f16_e32 v50, 0xbbc4, v25
	v_add_f16_e32 v13, v30, v13
	v_fmac_f16_e32 v47, 0xbbf1, v40
	v_add_f16_e32 v23, v41, v23
	v_add_f16_e32 v41, v49, v43
	v_fmamk_f16 v43, v40, 0xb3a8, v50
	v_mul_f16_e32 v30, 0x388b, v25
	v_sub_f16_e32 v38, v38, v39
	v_mul_f16_e32 v39, 0x388b, v13
	v_add_f16_e32 v46, v46, v48
	v_add_f16_e32 v32, v47, v32
	;; [unrolled: 1-line block ×3, first 2 shown]
	v_fmamk_f16 v45, v40, 0xba95, v30
	v_fmac_f16_e32 v30, 0x3a95, v40
	v_mul_f16_e32 v47, 0xbbc4, v13
	v_fmamk_f16 v48, v38, 0x3a95, v39
	v_pk_mul_f16 v27, 0x388b3b15, v27 op_sel_hi:[1,0]
	v_add_f16_e32 v26, v45, v26
	v_add_f16_e32 v30, v30, v31
	v_fmamk_f16 v31, v38, 0xb3a8, v47
	v_add_f16_e32 v45, v48, v46
	v_mul_f16_e32 v46, 0x3b15, v13
	v_pk_mul_f16 v34, 0xb5ac388b, v34 op_sel_hi:[1,0]
	v_add_f16_e32 v28, v7, v28
	v_add_f16_e32 v31, v31, v41
	v_pk_mul_f16 v33, 0xbbc42fb7, v33 op_sel_hi:[1,0]
	v_fmamk_f16 v41, v38, 0xb770, v46
	v_sub_f16_e32 v21, v21, v37
	v_pk_mul_f16 v25, 0xb9fdb5ac, v25 op_sel_hi:[1,0]
	v_fmac_f16_e32 v39, 0xba95, v38
	v_fmac_f16_e32 v50, 0x33a8, v40
	v_add_f16_e32 v41, v41, v43
	v_pk_fma_f16 v43, 0xba95b770, v29, v27 op_sel_hi:[1,0,1] neg_lo:[0,1,0] neg_hi:[0,1,0]
	v_pk_fma_f16 v27, 0xba95b770, v29, v27 op_sel_hi:[1,0,1]
	v_pk_fma_f16 v29, 0xbb7bba95, v44, v34 op_sel_hi:[1,0,1] neg_lo:[0,1,0] neg_hi:[0,1,0]
	v_pk_fma_f16 v34, 0xbb7bba95, v44, v34 op_sel_hi:[1,0,1]
	v_add_f16_e32 v23, v39, v23
	v_lshrrev_b32_e32 v7, 16, v43
	v_add_f16_e32 v37, v36, v43
	v_pk_add_f16 v27, v36, v27 op_sel_hi:[0,1]
	v_pk_fma_f16 v43, 0xb3a8bbf1, v42, v33 op_sel_hi:[1,0,1] neg_lo:[0,1,0] neg_hi:[0,1,0]
	v_pk_fma_f16 v33, 0xb3a8bbf1, v42, v33 op_sel_hi:[1,0,1]
	v_add_f16_e32 v7, v36, v7
	v_lshrrev_b32_e32 v36, 16, v29
	v_add_f16_e32 v29, v29, v37
	v_pk_add_f16 v27, v34, v27
	v_lshrrev_b32_e32 v34, 16, v43
	v_mul_f16_e32 v39, 0xb5ac, v13
	v_add_f16_e32 v7, v36, v7
	v_pk_fma_f16 v36, 0x394ebb7b, v40, v25 op_sel_hi:[1,0,1] neg_lo:[0,1,0] neg_hi:[0,1,0]
	v_add_f16_e32 v29, v43, v29
	v_pk_mul_f16 v13, 0x2fb7b9fd, v13 op_sel_hi:[1,0]
	v_pk_add_f16 v27, v33, v27
	v_add_f16_e32 v7, v34, v7
	v_lshrrev_b32_e32 v34, 16, v36
	v_pk_fma_f16 v25, 0x394ebb7b, v40, v25 op_sel_hi:[1,0,1]
	v_pk_fma_f16 v33, 0x3bf1b94e, v38, v13 op_sel_hi:[1,0,1] neg_lo:[0,1,0] neg_hi:[0,1,0]
	v_add_f16_e32 v29, v36, v29
	v_pk_fma_f16 v13, 0x3bf1b94e, v38, v13 op_sel_hi:[1,0,1]
	v_add_f16_e32 v7, v34, v7
	v_pk_mul_f16 v34, 0x3b15bbc4, v28 op_sel_hi:[1,0]
	v_pk_add_f16 v25, v25, v27
	v_lshrrev_b32_e32 v27, 16, v33
	v_add_f16_e32 v29, v33, v29
	v_add_f16_e32 v24, v50, v24
	v_pk_fma_f16 v36, 0x3770b3a8, v21, v34 op_sel_hi:[1,0,1] neg_lo:[0,1,0] neg_hi:[0,1,0]
	v_pk_add_f16 v13, v13, v25
	v_mul_f16_e32 v25, 0xb9fd, v28
	v_add_f16_e32 v7, v27, v7
	v_pk_fma_f16 v33, 0x3770b3a8, v21, v34 op_sel_hi:[1,0,1]
	v_lshrrev_b32_e32 v27, 16, v36
	v_add_f16_e32 v29, v36, v29
	v_mul_f16_e32 v34, 0x388b, v28
	v_fmamk_f16 v36, v21, 0x394e, v25
	v_fmac_f16_e32 v25, 0xb94e, v21
	v_fmac_f16_e32 v46, 0x3770, v38
	v_fmamk_f16 v48, v38, 0x3b7b, v39
	v_fmac_f16_e32 v39, 0xbb7b, v38
	v_add_f16_e32 v27, v27, v7
	v_pk_add_f16 v13, v33, v13
	v_fmamk_f16 v33, v21, 0xba95, v34
	v_mul_f16_e32 v37, 0xb5ac, v28
	v_add_f16_e32 v7, v25, v23
	v_mul_f16_e32 v23, 0x2fb7, v28
	v_fmac_f16_e32 v47, 0x33a8, v38
	v_add_f16_e32 v24, v46, v24
	v_add_f16_e32 v26, v48, v26
	;; [unrolled: 1-line block ×4, first 2 shown]
	v_fmamk_f16 v28, v21, 0x3b7b, v37
	v_fmac_f16_e32 v37, 0xbb7b, v21
	v_fmamk_f16 v31, v21, 0xbbf1, v23
	v_fmac_f16_e32 v23, 0x3bf1, v21
	v_add_f16_e32 v32, v47, v32
	v_fmac_f16_e32 v34, 0x3a95, v21
	v_add_f16_e32 v36, v36, v45
	v_add_f16_e32 v28, v28, v41
	;; [unrolled: 1-line block ×6, first 2 shown]
	global_wb scope:SCOPE_SE
	s_wait_dscnt 0x0
	s_barrier_signal -1
	s_barrier_wait -1
	global_inv scope:SCOPE_SE
	v_lshrrev_b32_e32 v21, 16, v13
	ds_store_b16 v35, v22
	ds_store_b16 v35, v29 offset:34
	ds_store_b16 v35, v27 offset:68
	;; [unrolled: 1-line block ×12, first 2 shown]
	global_wb scope:SCOPE_SE
	s_wait_dscnt 0x0
	s_barrier_signal -1
	s_barrier_wait -1
	global_inv scope:SCOPE_SE
	ds_load_u16 v22, v1
	ds_load_u16 v28, v0 offset:1496
	ds_load_u16 v24, v0 offset:1326
	;; [unrolled: 1-line block ×9, first 2 shown]
	s_and_saveexec_b32 s1, s0
	s_cbranch_execz .LBB0_18
; %bb.17:
	ds_load_u16 v5, v0 offset:1666
	ds_load_u16 v7, v0 offset:340
	;; [unrolled: 1-line block ×4, first 2 shown]
	s_wait_dscnt 0x3
	ds_load_u16_d16_hi v5, v0 offset:2108
.LBB0_18:
	s_wait_alu 0xfffe
	s_or_b32 exec_lo, exec_lo, s1
	s_and_saveexec_b32 s1, vcc_lo
	s_cbranch_execz .LBB0_21
; %bb.19:
	v_dual_mov_b32 v1, 0 :: v_dual_add_nc_u32 v56, 0x55, v20
	v_mad_co_u64_u32 v[40:41], null, s8, v20, 0
	v_add_nc_u32_e32 v53, 0x1ba, v20
	v_add_nc_u32_e32 v54, 0x297, v20
	;; [unrolled: 1-line block ×3, first 2 shown]
	v_mul_hi_u32 v57, 0x288b0129, v56
	s_delay_alu instid0(VALU_DEP_4) | instskip(SKIP_3) | instid1(VALU_DEP_3)
	v_mad_co_u64_u32 v[44:45], null, s8, v53, 0
	v_lshlrev_b32_e32 v0, 2, v56
	v_mad_co_u64_u32 v[46:47], null, s8, v54, 0
	v_mad_co_u64_u32 v[48:49], null, s8, v55, 0
	v_lshlrev_b64_e32 v[32:33], 2, v[0:1]
	v_lshlrev_b32_e32 v0, 2, v20
	v_add_nc_u32_e32 v52, 0xdd, v20
	s_delay_alu instid0(VALU_DEP_2) | instskip(NEXT) | instid1(VALU_DEP_4)
	v_lshlrev_b64_e32 v[36:37], 2, v[0:1]
	v_add_co_u32 v32, vcc_lo, s4, v32
	s_wait_alu 0xfffd
	v_add_co_ci_u32_e32 v33, vcc_lo, s5, v33, vcc_lo
	v_mov_b32_e32 v0, v41
	s_delay_alu instid0(VALU_DEP_4)
	v_add_co_u32 v36, vcc_lo, s4, v36
	global_load_b128 v[32:35], v[32:33], off offset:816
	s_wait_alu 0xfffd
	v_add_co_ci_u32_e32 v37, vcc_lo, s5, v37, vcc_lo
	v_mov_b32_e32 v41, v45
	v_mov_b32_e32 v45, v49
	v_mad_co_u64_u32 v[42:43], null, s8, v52, 0
	global_load_b128 v[36:39], v[36:37], off offset:816
	v_mad_co_u64_u32 v[50:51], null, s9, v20, v[0:1]
	v_add_co_u32 v18, vcc_lo, s10, v18
	s_wait_alu 0xfffd
	v_add_co_ci_u32_e32 v19, vcc_lo, s11, v19, vcc_lo
	v_dual_mov_b32 v0, v43 :: v_dual_mov_b32 v43, v47
	v_sub_nc_u32_e32 v47, v56, v57
	s_delay_alu instid0(VALU_DEP_2) | instskip(NEXT) | instid1(VALU_DEP_2)
	v_mad_co_u64_u32 v[51:52], null, s9, v52, v[0:1]
	v_lshrrev_b32_e32 v0, 1, v47
	v_mad_co_u64_u32 v[52:53], null, s9, v53, v[41:42]
	v_mov_b32_e32 v41, v50
	v_mad_co_u64_u32 v[53:54], null, s9, v54, v[43:44]
	s_delay_alu instid0(VALU_DEP_4) | instskip(SKIP_1) | instid1(VALU_DEP_4)
	v_dual_mov_b32 v43, v51 :: v_dual_add_nc_u32 v0, v0, v57
	v_mad_co_u64_u32 v[54:55], null, s9, v55, v[45:46]
	v_lshlrev_b64_e32 v[40:41], 2, v[40:41]
	s_delay_alu instid0(VALU_DEP_3) | instskip(NEXT) | instid1(VALU_DEP_4)
	v_lshrrev_b32_e32 v0, 7, v0
	v_lshlrev_b64_e32 v[42:43], 2, v[42:43]
	s_delay_alu instid0(VALU_DEP_2) | instskip(SKIP_3) | instid1(VALU_DEP_4)
	v_mad_u32_u24 v60, 0x374, v0, v56
	v_mov_b32_e32 v45, v52
	v_mov_b32_e32 v47, v53
	v_add_co_u32 v40, vcc_lo, v18, v40
	v_add_nc_u32_e32 v64, 0x297, v60
	v_mad_co_u64_u32 v[50:51], null, s8, v60, 0
	v_dual_mov_b32 v49, v54 :: v_dual_add_nc_u32 v62, 0xdd, v60
	v_add_nc_u32_e32 v65, 0x374, v60
	s_delay_alu instid0(VALU_DEP_4) | instskip(NEXT) | instid1(VALU_DEP_3)
	v_mad_co_u64_u32 v[56:57], null, s8, v64, 0
	v_mad_co_u64_u32 v[52:53], null, s8, v62, 0
	v_dual_mov_b32 v0, v51 :: v_dual_add_nc_u32 v63, 0x1ba, v60
	s_delay_alu instid0(VALU_DEP_4) | instskip(SKIP_1) | instid1(VALU_DEP_3)
	v_mad_co_u64_u32 v[58:59], null, s8, v65, 0
	v_lshlrev_b64_e32 v[44:45], 2, v[44:45]
	v_mad_co_u64_u32 v[60:61], null, s9, v60, v[0:1]
	v_mov_b32_e32 v0, v53
	v_mad_co_u64_u32 v[54:55], null, s8, v63, 0
	v_mov_b32_e32 v53, v57
	s_wait_alu 0xfffd
	v_add_co_ci_u32_e32 v41, vcc_lo, v19, v41, vcc_lo
	v_mad_co_u64_u32 v[61:62], null, s9, v62, v[0:1]
	v_lshlrev_b64_e32 v[46:47], 2, v[46:47]
	v_mov_b32_e32 v51, v55
	v_mov_b32_e32 v55, v59
	v_add_co_u32 v42, vcc_lo, v18, v42
	s_wait_alu 0xfffd
	v_add_co_ci_u32_e32 v43, vcc_lo, v19, v43, vcc_lo
	v_mad_co_u64_u32 v[62:63], null, s9, v63, v[51:52]
	v_mad_co_u64_u32 v[63:64], null, s9, v64, v[53:54]
	v_mad_co_u64_u32 v[64:65], null, s9, v65, v[55:56]
	v_mov_b32_e32 v51, v60
	v_mov_b32_e32 v53, v61
	;; [unrolled: 1-line block ×3, first 2 shown]
	v_lshlrev_b64_e32 v[48:49], 2, v[48:49]
	v_mov_b32_e32 v57, v63
	v_add_co_u32 v44, vcc_lo, v18, v44
	v_mov_b32_e32 v59, v64
	s_wait_alu 0xfffd
	v_add_co_ci_u32_e32 v45, vcc_lo, v19, v45, vcc_lo
	v_add_co_u32 v46, vcc_lo, v18, v46
	v_lshlrev_b64_e32 v[50:51], 2, v[50:51]
	s_wait_alu 0xfffd
	v_add_co_ci_u32_e32 v47, vcc_lo, v19, v47, vcc_lo
	v_add_co_u32 v48, vcc_lo, v18, v48
	v_lshlrev_b64_e32 v[52:53], 2, v[52:53]
	s_wait_alu 0xfffd
	v_add_co_ci_u32_e32 v49, vcc_lo, v19, v49, vcc_lo
	v_lshlrev_b64_e32 v[54:55], 2, v[54:55]
	v_add_co_u32 v50, vcc_lo, v18, v50
	s_wait_alu 0xfffd
	v_add_co_ci_u32_e32 v51, vcc_lo, v19, v51, vcc_lo
	v_lshlrev_b64_e32 v[56:57], 2, v[56:57]
	v_add_co_u32 v52, vcc_lo, v18, v52
	;; [unrolled: 4-line block ×3, first 2 shown]
	s_wait_alu 0xfffd
	v_add_co_ci_u32_e32 v55, vcc_lo, v19, v55, vcc_lo
	v_add_co_u32 v56, vcc_lo, v18, v56
	s_wait_alu 0xfffd
	v_add_co_ci_u32_e32 v57, vcc_lo, v19, v57, vcc_lo
	v_add_co_u32 v58, vcc_lo, v18, v58
	s_wait_alu 0xfffd
	v_add_co_ci_u32_e32 v59, vcc_lo, v19, v59, vcc_lo
	s_wait_loadcnt 0x1
	v_lshrrev_b32_e32 v0, 16, v32
	v_lshrrev_b32_e32 v60, 16, v33
	;; [unrolled: 1-line block ×4, first 2 shown]
	s_delay_alu instid0(VALU_DEP_4) | instskip(NEXT) | instid1(VALU_DEP_4)
	v_mul_f16_e32 v64, v15, v0
	v_mul_f16_e32 v63, v16, v60
	s_delay_alu instid0(VALU_DEP_4) | instskip(NEXT) | instid1(VALU_DEP_4)
	v_mul_f16_e32 v65, v14, v61
	v_mul_f16_e32 v66, v17, v62
	s_wait_dscnt 0x6
	v_mul_f16_e32 v60, v29, v60
	v_mul_f16_e32 v61, v28, v61
	s_wait_dscnt 0x4
	v_mul_f16_e32 v0, v30, v0
	s_wait_dscnt 0x0
	v_mul_f16_e32 v62, v31, v62
	s_wait_loadcnt 0x0
	v_lshrrev_b32_e32 v68, 16, v37
	v_lshrrev_b32_e32 v69, 16, v38
	;; [unrolled: 1-line block ×4, first 2 shown]
	v_fma_f16 v29, v29, v33, -v63
	v_fma_f16 v30, v30, v32, -v64
	;; [unrolled: 1-line block ×4, first 2 shown]
	v_fmac_f16_e32 v60, v16, v33
	v_fmac_f16_e32 v61, v14, v34
	;; [unrolled: 1-line block ×4, first 2 shown]
	v_mul_f16_e32 v15, v10, v68
	v_mul_f16_e32 v17, v9, v69
	;; [unrolled: 1-line block ×8, first 2 shown]
	v_sub_f16_e32 v63, v29, v30
	v_add_f16_e32 v66, v30, v31
	v_sub_f16_e32 v67, v0, v62
	v_sub_f16_e32 v68, v60, v0
	v_sub_f16_e32 v70, v30, v31
	v_add_f16_e32 v71, v0, v62
	v_sub_f16_e32 v73, v30, v29
	v_sub_f16_e32 v76, v0, v60
	v_add_f16_e32 v30, v23, v30
	v_add_f16_e32 v0, v8, v0
	v_fma_f16 v15, v25, v37, -v15
	v_fma_f16 v17, v24, v38, -v17
	v_fmac_f16_e32 v34, v10, v37
	v_fmac_f16_e32 v35, v9, v38
	v_sub_f16_e32 v69, v61, v62
	v_sub_f16_e32 v74, v31, v28
	v_fma_f16 v14, v26, v36, -v14
	v_fma_f16 v16, v27, v39, -v16
	v_fmac_f16_e32 v32, v11, v36
	v_fmac_f16_e32 v33, v12, v39
	v_sub_f16_e32 v64, v28, v31
	v_sub_f16_e32 v65, v60, v61
	v_add_f16_e32 v78, v60, v61
	v_add_f16_e32 v26, v29, v30
	;; [unrolled: 1-line block ×9, first 2 shown]
	v_sub_f16_e32 v72, v29, v28
	v_add_f16_e32 v75, v29, v28
	v_sub_f16_e32 v77, v62, v61
	v_add_f16_e32 v9, v63, v64
	v_fma_f16 v10, -0.5, v66, v23
	v_fma_f16 v12, -0.5, v71, v8
	v_sub_f16_e32 v27, v14, v15
	v_sub_f16_e32 v36, v32, v33
	;; [unrolled: 1-line block ×6, first 2 shown]
	v_add_f16_e32 v14, v22, v14
	v_add_f16_e32 v32, v6, v32
	;; [unrolled: 1-line block ×3, first 2 shown]
	v_fma_f16 v28, -0.5, v30, v22
	v_fma_f16 v30, -0.5, v60, v6
	v_sub_f16_e32 v37, v34, v35
	v_sub_f16_e32 v64, v15, v17
	v_fma_f16 v22, -0.5, v69, v22
	v_fma_f16 v6, -0.5, v74, v6
	;; [unrolled: 1-line block ×3, first 2 shown]
	v_add_f16_e32 v25, v76, v77
	v_fma_f16 v8, -0.5, v78, v8
	v_fmamk_f16 v75, v65, 0x3b9c, v10
	v_fmamk_f16 v76, v72, 0xbb9c, v12
	v_fmac_f16_e32 v10, 0xbb9c, v65
	v_fmac_f16_e32 v12, 0x3b9c, v72
	v_add_f16_e32 v14, v14, v15
	v_add_f16_e32 v15, v32, v34
	v_sub_f16_e32 v29, v16, v17
	v_sub_f16_e32 v39, v33, v35
	v_add_f16_e32 v26, v26, v31
	v_fmamk_f16 v31, v36, 0xbb9c, v28
	v_fmamk_f16 v32, v63, 0x3b9c, v30
	v_fmac_f16_e32 v28, 0x3b9c, v36
	v_fmac_f16_e32 v30, 0xbb9c, v63
	v_sub_f16_e32 v68, v17, v16
	v_sub_f16_e32 v73, v35, v33
	v_fmamk_f16 v34, v37, 0x3b9c, v22
	v_fmamk_f16 v60, v64, 0xbb9c, v6
	v_fmac_f16_e32 v22, 0xbb9c, v37
	v_fmac_f16_e32 v6, 0x3b9c, v64
	v_fmamk_f16 v77, v67, 0x3b9c, v23
	v_fmamk_f16 v78, v70, 0xbb9c, v8
	v_fmac_f16_e32 v23, 0xbb9c, v67
	v_fmac_f16_e32 v8, 0x3b9c, v70
	;; [unrolled: 1-line block ×6, first 2 shown]
	v_add_f16_e32 v14, v14, v17
	v_add_f16_e32 v15, v15, v35
	;; [unrolled: 1-line block ×4, first 2 shown]
	v_fmac_f16_e32 v28, 0x38b4, v37
	v_fmac_f16_e32 v30, 0xb8b4, v64
	v_add_f16_e32 v38, v66, v68
	v_add_f16_e32 v39, v71, v73
	v_fmac_f16_e32 v22, 0x38b4, v36
	v_fmac_f16_e32 v6, 0xb8b4, v63
	;; [unrolled: 1-line block ×6, first 2 shown]
	v_add_f16_e32 v0, v0, v61
	v_fmac_f16_e32 v77, 0x38b4, v65
	v_fmac_f16_e32 v78, 0xb8b4, v72
	;; [unrolled: 1-line block ×8, first 2 shown]
	v_add_f16_e32 v9, v16, v14
	v_add_f16_e32 v11, v33, v15
	v_fmac_f16_e32 v28, 0x34f2, v27
	v_fmac_f16_e32 v30, 0x34f2, v29
	;; [unrolled: 1-line block ×8, first 2 shown]
	v_add_f16_e32 v0, v0, v62
	v_fmac_f16_e32 v77, 0x34f2, v24
	v_fmac_f16_e32 v78, 0x34f2, v25
	;; [unrolled: 1-line block ×4, first 2 shown]
	v_pack_b32_f16 v9, v11, v9
	v_pack_b32_f16 v14, v30, v28
	;; [unrolled: 1-line block ×10, first 2 shown]
	s_clause 0x9
	global_store_b32 v[40:41], v9, off
	global_store_b32 v[42:43], v14, off
	;; [unrolled: 1-line block ×10, first 2 shown]
	s_and_b32 exec_lo, exec_lo, s0
	s_cbranch_execz .LBB0_21
; %bb.20:
	v_add_nc_u32_e32 v28, 0x264, v20
	v_add_nc_u32_e32 v27, 0x187, v20
	v_subrev_nc_u32_e32 v0, 51, v20
	s_delay_alu instid0(VALU_DEP_3) | instskip(SKIP_1) | instid1(VALU_DEP_4)
	v_mad_co_u64_u32 v[16:17], null, s8, v28, 0
	v_add_nc_u32_e32 v29, 0x341, v20
	v_mad_co_u64_u32 v[14:15], null, s8, v27, 0
	s_delay_alu instid0(VALU_DEP_3) | instskip(NEXT) | instid1(VALU_DEP_3)
	v_mov_b32_e32 v12, v17
	v_mad_co_u64_u32 v[22:23], null, s8, v29, 0
	v_add_nc_u32_e32 v26, 0xaa, v20
	v_add_nc_u32_e32 v20, 0x41e, v20
	v_mov_b32_e32 v6, v15
	s_delay_alu instid0(VALU_DEP_2) | instskip(SKIP_2) | instid1(VALU_DEP_1)
	v_mad_co_u64_u32 v[24:25], null, s8, v20, 0
	v_mov_b32_e32 v15, v23
	v_cndmask_b32_e64 v0, v0, v26, s0
	v_dual_mov_b32 v17, v25 :: v_dual_lshlrev_b32 v0, 2, v0
	s_delay_alu instid0(VALU_DEP_1) | instskip(NEXT) | instid1(VALU_DEP_1)
	v_lshlrev_b64_e32 v[0:1], 2, v[0:1]
	v_add_co_u32 v0, vcc_lo, s4, v0
	s_wait_alu 0xfffd
	s_delay_alu instid0(VALU_DEP_2) | instskip(SKIP_2) | instid1(VALU_DEP_1)
	v_add_co_ci_u32_e32 v1, vcc_lo, s5, v1, vcc_lo
	global_load_b128 v[8:11], v[0:1], off offset:816
	v_mad_co_u64_u32 v[0:1], null, s8, v26, 0
	v_mad_co_u64_u32 v[25:26], null, s9, v26, v[1:2]
	;; [unrolled: 1-line block ×3, first 2 shown]
	v_lshrrev_b32_e32 v6, 16, v4
	s_delay_alu instid0(VALU_DEP_3)
	v_mov_b32_e32 v1, v25
	v_mad_co_u64_u32 v[27:28], null, s9, v28, v[12:13]
	v_mad_co_u64_u32 v[28:29], null, s9, v29, v[15:16]
	v_mov_b32_e32 v15, v26
	v_mad_co_u64_u32 v[29:30], null, s9, v20, v[17:18]
	v_lshlrev_b64_e32 v[0:1], 2, v[0:1]
	v_mov_b32_e32 v17, v27
	s_delay_alu instid0(VALU_DEP_4)
	v_lshlrev_b64_e32 v[14:15], 2, v[14:15]
	v_mov_b32_e32 v23, v28
	v_lshrrev_b32_e32 v20, 16, v5
	v_lshrrev_b32_e32 v12, 16, v2
	v_lshlrev_b64_e32 v[16:17], 2, v[16:17]
	v_add_co_u32 v0, vcc_lo, v18, v0
	v_mov_b32_e32 v25, v29
	s_wait_alu 0xfffd
	v_add_co_ci_u32_e32 v1, vcc_lo, v19, v1, vcc_lo
	v_lshlrev_b64_e32 v[22:23], 2, v[22:23]
	v_add_co_u32 v14, vcc_lo, v18, v14
	s_wait_alu 0xfffd
	v_add_co_ci_u32_e32 v15, vcc_lo, v19, v15, vcc_lo
	v_lshlrev_b64_e32 v[24:25], 2, v[24:25]
	v_add_co_u32 v16, vcc_lo, v18, v16
	s_wait_alu 0xfffd
	v_add_co_ci_u32_e32 v17, vcc_lo, v19, v17, vcc_lo
	v_add_co_u32 v22, vcc_lo, v18, v22
	s_wait_alu 0xfffd
	v_add_co_ci_u32_e32 v23, vcc_lo, v19, v23, vcc_lo
	;; [unrolled: 3-line block ×3, first 2 shown]
	s_wait_loadcnt 0x0
	v_lshrrev_b32_e32 v26, 16, v8
	v_lshrrev_b32_e32 v24, 16, v9
	;; [unrolled: 1-line block ×4, first 2 shown]
	s_delay_alu instid0(VALU_DEP_4)
	v_mul_f16_e32 v28, v21, v26
	v_mul_f16_e32 v26, v6, v26
	;; [unrolled: 1-line block ×8, first 2 shown]
	v_fmac_f16_e32 v28, v6, v8
	v_fma_f16 v6, v21, v8, -v26
	v_fmac_f16_e32 v29, v4, v9
	v_fma_f16 v4, v13, v9, -v24
	;; [unrolled: 2-line block ×4, first 2 shown]
	v_add_f16_e32 v25, v7, v6
	v_add_f16_e32 v9, v29, v30
	;; [unrolled: 1-line block ×6, first 2 shown]
	v_sub_f16_e32 v10, v6, v2
	v_sub_f16_e32 v11, v4, v5
	;; [unrolled: 1-line block ×9, first 2 shown]
	v_fma_f16 v9, -0.5, v9, v3
	v_fmac_f16_e32 v3, -0.5, v20
	v_add_f16_e32 v4, v25, v4
	v_fma_f16 v20, -0.5, v26, v7
	v_sub_f16_e32 v28, v29, v30
	v_fmac_f16_e32 v7, -0.5, v34
	v_add_f16_e32 v8, v8, v29
	v_sub_f16_e32 v33, v2, v5
	v_sub_f16_e32 v35, v5, v2
	v_add_f16_e32 v12, v12, v13
	v_add_f16_e32 v13, v21, v24
	v_fmamk_f16 v24, v10, 0xbb9c, v9
	v_add_f16_e32 v4, v4, v5
	v_fmamk_f16 v5, v27, 0x3b9c, v20
	v_fmamk_f16 v25, v11, 0x3b9c, v3
	v_fmamk_f16 v26, v28, 0xbb9c, v7
	v_fmac_f16_e32 v3, 0xbb9c, v11
	v_fmac_f16_e32 v7, 0x3b9c, v28
	;; [unrolled: 1-line block ×4, first 2 shown]
	v_add_f16_e32 v8, v8, v30
	v_add_f16_e32 v21, v32, v33
	v_fmac_f16_e32 v24, 0xb8b4, v11
	v_fmac_f16_e32 v5, 0x38b4, v28
	v_add_f16_e32 v6, v6, v35
	v_fmac_f16_e32 v25, 0xb8b4, v10
	v_fmac_f16_e32 v26, 0x38b4, v27
	;; [unrolled: 1-line block ×6, first 2 shown]
	v_add_f16_e32 v8, v8, v31
	v_add_f16_e32 v2, v4, v2
	v_fmac_f16_e32 v24, 0x34f2, v12
	v_fmac_f16_e32 v5, 0x34f2, v21
	;; [unrolled: 1-line block ×8, first 2 shown]
	v_pack_b32_f16 v2, v8, v2
	v_pack_b32_f16 v4, v24, v5
	v_pack_b32_f16 v5, v25, v26
	v_pack_b32_f16 v3, v3, v7
	v_pack_b32_f16 v6, v9, v20
	s_clause 0x4
	global_store_b32 v[0:1], v2, off
	global_store_b32 v[14:15], v4, off
	;; [unrolled: 1-line block ×5, first 2 shown]
.LBB0_21:
	s_nop 0
	s_sendmsg sendmsg(MSG_DEALLOC_VGPRS)
	s_endpgm
	.section	.rodata,"a",@progbits
	.p2align	6, 0x0
	.amdhsa_kernel fft_rtc_back_len1105_factors_17_13_5_wgs_255_tpt_85_halfLds_half_ip_CI_sbrr_dirReg
		.amdhsa_group_segment_fixed_size 0
		.amdhsa_private_segment_fixed_size 0
		.amdhsa_kernarg_size 88
		.amdhsa_user_sgpr_count 2
		.amdhsa_user_sgpr_dispatch_ptr 0
		.amdhsa_user_sgpr_queue_ptr 0
		.amdhsa_user_sgpr_kernarg_segment_ptr 1
		.amdhsa_user_sgpr_dispatch_id 0
		.amdhsa_user_sgpr_private_segment_size 0
		.amdhsa_wavefront_size32 1
		.amdhsa_uses_dynamic_stack 0
		.amdhsa_enable_private_segment 0
		.amdhsa_system_sgpr_workgroup_id_x 1
		.amdhsa_system_sgpr_workgroup_id_y 0
		.amdhsa_system_sgpr_workgroup_id_z 0
		.amdhsa_system_sgpr_workgroup_info 0
		.amdhsa_system_vgpr_workitem_id 0
		.amdhsa_next_free_vgpr 96
		.amdhsa_next_free_sgpr 35
		.amdhsa_reserve_vcc 1
		.amdhsa_float_round_mode_32 0
		.amdhsa_float_round_mode_16_64 0
		.amdhsa_float_denorm_mode_32 3
		.amdhsa_float_denorm_mode_16_64 3
		.amdhsa_fp16_overflow 0
		.amdhsa_workgroup_processor_mode 1
		.amdhsa_memory_ordered 1
		.amdhsa_forward_progress 0
		.amdhsa_round_robin_scheduling 0
		.amdhsa_exception_fp_ieee_invalid_op 0
		.amdhsa_exception_fp_denorm_src 0
		.amdhsa_exception_fp_ieee_div_zero 0
		.amdhsa_exception_fp_ieee_overflow 0
		.amdhsa_exception_fp_ieee_underflow 0
		.amdhsa_exception_fp_ieee_inexact 0
		.amdhsa_exception_int_div_zero 0
	.end_amdhsa_kernel
	.text
.Lfunc_end0:
	.size	fft_rtc_back_len1105_factors_17_13_5_wgs_255_tpt_85_halfLds_half_ip_CI_sbrr_dirReg, .Lfunc_end0-fft_rtc_back_len1105_factors_17_13_5_wgs_255_tpt_85_halfLds_half_ip_CI_sbrr_dirReg
                                        ; -- End function
	.section	.AMDGPU.csdata,"",@progbits
; Kernel info:
; codeLenInByte = 13488
; NumSgprs: 37
; NumVgprs: 96
; ScratchSize: 0
; MemoryBound: 0
; FloatMode: 240
; IeeeMode: 1
; LDSByteSize: 0 bytes/workgroup (compile time only)
; SGPRBlocks: 4
; VGPRBlocks: 11
; NumSGPRsForWavesPerEU: 37
; NumVGPRsForWavesPerEU: 96
; Occupancy: 16
; WaveLimiterHint : 1
; COMPUTE_PGM_RSRC2:SCRATCH_EN: 0
; COMPUTE_PGM_RSRC2:USER_SGPR: 2
; COMPUTE_PGM_RSRC2:TRAP_HANDLER: 0
; COMPUTE_PGM_RSRC2:TGID_X_EN: 1
; COMPUTE_PGM_RSRC2:TGID_Y_EN: 0
; COMPUTE_PGM_RSRC2:TGID_Z_EN: 0
; COMPUTE_PGM_RSRC2:TIDIG_COMP_CNT: 0
	.text
	.p2alignl 7, 3214868480
	.fill 96, 4, 3214868480
	.type	__hip_cuid_cfe5b3a8e595a483,@object ; @__hip_cuid_cfe5b3a8e595a483
	.section	.bss,"aw",@nobits
	.globl	__hip_cuid_cfe5b3a8e595a483
__hip_cuid_cfe5b3a8e595a483:
	.byte	0                               ; 0x0
	.size	__hip_cuid_cfe5b3a8e595a483, 1

	.ident	"AMD clang version 19.0.0git (https://github.com/RadeonOpenCompute/llvm-project roc-6.4.0 25133 c7fe45cf4b819c5991fe208aaa96edf142730f1d)"
	.section	".note.GNU-stack","",@progbits
	.addrsig
	.addrsig_sym __hip_cuid_cfe5b3a8e595a483
	.amdgpu_metadata
---
amdhsa.kernels:
  - .args:
      - .actual_access:  read_only
        .address_space:  global
        .offset:         0
        .size:           8
        .value_kind:     global_buffer
      - .offset:         8
        .size:           8
        .value_kind:     by_value
      - .actual_access:  read_only
        .address_space:  global
        .offset:         16
        .size:           8
        .value_kind:     global_buffer
      - .actual_access:  read_only
        .address_space:  global
        .offset:         24
        .size:           8
        .value_kind:     global_buffer
      - .offset:         32
        .size:           8
        .value_kind:     by_value
      - .actual_access:  read_only
        .address_space:  global
        .offset:         40
        .size:           8
        .value_kind:     global_buffer
      - .actual_access:  read_only
        .address_space:  global
        .offset:         48
        .size:           8
        .value_kind:     global_buffer
      - .offset:         56
        .size:           4
        .value_kind:     by_value
      - .actual_access:  read_only
        .address_space:  global
        .offset:         64
        .size:           8
        .value_kind:     global_buffer
      - .actual_access:  read_only
        .address_space:  global
        .offset:         72
        .size:           8
        .value_kind:     global_buffer
      - .address_space:  global
        .offset:         80
        .size:           8
        .value_kind:     global_buffer
    .group_segment_fixed_size: 0
    .kernarg_segment_align: 8
    .kernarg_segment_size: 88
    .language:       OpenCL C
    .language_version:
      - 2
      - 0
    .max_flat_workgroup_size: 255
    .name:           fft_rtc_back_len1105_factors_17_13_5_wgs_255_tpt_85_halfLds_half_ip_CI_sbrr_dirReg
    .private_segment_fixed_size: 0
    .sgpr_count:     37
    .sgpr_spill_count: 0
    .symbol:         fft_rtc_back_len1105_factors_17_13_5_wgs_255_tpt_85_halfLds_half_ip_CI_sbrr_dirReg.kd
    .uniform_work_group_size: 1
    .uses_dynamic_stack: false
    .vgpr_count:     96
    .vgpr_spill_count: 0
    .wavefront_size: 32
    .workgroup_processor_mode: 1
amdhsa.target:   amdgcn-amd-amdhsa--gfx1201
amdhsa.version:
  - 1
  - 2
...

	.end_amdgpu_metadata
